;; amdgpu-corpus repo=ROCm/rocFFT kind=compiled arch=gfx906 opt=O3
	.text
	.amdgcn_target "amdgcn-amd-amdhsa--gfx906"
	.amdhsa_code_object_version 6
	.protected	fft_rtc_back_len1701_factors_3_3_3_3_3_7_wgs_63_tpt_63_halfLds_dp_op_CI_CI_unitstride_sbrr_dirReg ; -- Begin function fft_rtc_back_len1701_factors_3_3_3_3_3_7_wgs_63_tpt_63_halfLds_dp_op_CI_CI_unitstride_sbrr_dirReg
	.globl	fft_rtc_back_len1701_factors_3_3_3_3_3_7_wgs_63_tpt_63_halfLds_dp_op_CI_CI_unitstride_sbrr_dirReg
	.p2align	8
	.type	fft_rtc_back_len1701_factors_3_3_3_3_3_7_wgs_63_tpt_63_halfLds_dp_op_CI_CI_unitstride_sbrr_dirReg,@function
fft_rtc_back_len1701_factors_3_3_3_3_3_7_wgs_63_tpt_63_halfLds_dp_op_CI_CI_unitstride_sbrr_dirReg: ; @fft_rtc_back_len1701_factors_3_3_3_3_3_7_wgs_63_tpt_63_halfLds_dp_op_CI_CI_unitstride_sbrr_dirReg
; %bb.0:
	s_load_dwordx4 s[12:15], s[4:5], 0x58
	s_load_dwordx4 s[8:11], s[4:5], 0x0
	;; [unrolled: 1-line block ×3, first 2 shown]
	v_mul_u32_u24_e32 v1, 0x411, v0
	v_add_u32_sdwa v6, s6, v1 dst_sel:DWORD dst_unused:UNUSED_PAD src0_sel:DWORD src1_sel:WORD_1
	v_mov_b32_e32 v1, 0
	s_waitcnt lgkmcnt(0)
	v_cmp_lt_u64_e64 s[0:1], s[10:11], 2
	v_mov_b32_e32 v4, 0
	v_mov_b32_e32 v7, v1
	s_and_b64 vcc, exec, s[0:1]
	v_mov_b32_e32 v5, 0
	s_cbranch_vccnz .LBB0_8
; %bb.1:
	s_load_dwordx2 s[0:1], s[4:5], 0x10
	s_add_u32 s2, s18, 8
	s_addc_u32 s3, s19, 0
	s_add_u32 s6, s16, 8
	v_mov_b32_e32 v4, 0
	s_addc_u32 s7, s17, 0
	v_mov_b32_e32 v5, 0
	s_waitcnt lgkmcnt(0)
	s_add_u32 s20, s0, 8
	v_mov_b32_e32 v145, v5
	s_addc_u32 s21, s1, 0
	s_mov_b64 s[22:23], 1
	v_mov_b32_e32 v144, v4
.LBB0_2:                                ; =>This Inner Loop Header: Depth=1
	s_load_dwordx2 s[24:25], s[20:21], 0x0
                                        ; implicit-def: $vgpr146_vgpr147
	s_waitcnt lgkmcnt(0)
	v_or_b32_e32 v2, s25, v7
	v_cmp_ne_u64_e32 vcc, 0, v[1:2]
	s_and_saveexec_b64 s[0:1], vcc
	s_xor_b64 s[26:27], exec, s[0:1]
	s_cbranch_execz .LBB0_4
; %bb.3:                                ;   in Loop: Header=BB0_2 Depth=1
	v_cvt_f32_u32_e32 v2, s24
	v_cvt_f32_u32_e32 v3, s25
	s_sub_u32 s0, 0, s24
	s_subb_u32 s1, 0, s25
	v_mac_f32_e32 v2, 0x4f800000, v3
	v_rcp_f32_e32 v2, v2
	v_mul_f32_e32 v2, 0x5f7ffffc, v2
	v_mul_f32_e32 v3, 0x2f800000, v2
	v_trunc_f32_e32 v3, v3
	v_mac_f32_e32 v2, 0xcf800000, v3
	v_cvt_u32_f32_e32 v3, v3
	v_cvt_u32_f32_e32 v2, v2
	v_mul_lo_u32 v8, s0, v3
	v_mul_hi_u32 v9, s0, v2
	v_mul_lo_u32 v11, s1, v2
	v_mul_lo_u32 v10, s0, v2
	v_add_u32_e32 v8, v9, v8
	v_add_u32_e32 v8, v8, v11
	v_mul_hi_u32 v9, v2, v10
	v_mul_lo_u32 v11, v2, v8
	v_mul_hi_u32 v13, v2, v8
	v_mul_hi_u32 v12, v3, v10
	v_mul_lo_u32 v10, v3, v10
	v_mul_hi_u32 v14, v3, v8
	v_add_co_u32_e32 v9, vcc, v9, v11
	v_addc_co_u32_e32 v11, vcc, 0, v13, vcc
	v_mul_lo_u32 v8, v3, v8
	v_add_co_u32_e32 v9, vcc, v9, v10
	v_addc_co_u32_e32 v9, vcc, v11, v12, vcc
	v_addc_co_u32_e32 v10, vcc, 0, v14, vcc
	v_add_co_u32_e32 v8, vcc, v9, v8
	v_addc_co_u32_e32 v9, vcc, 0, v10, vcc
	v_add_co_u32_e32 v2, vcc, v2, v8
	v_addc_co_u32_e32 v3, vcc, v3, v9, vcc
	v_mul_lo_u32 v8, s0, v3
	v_mul_hi_u32 v9, s0, v2
	v_mul_lo_u32 v10, s1, v2
	v_mul_lo_u32 v11, s0, v2
	v_add_u32_e32 v8, v9, v8
	v_add_u32_e32 v8, v8, v10
	v_mul_lo_u32 v12, v2, v8
	v_mul_hi_u32 v13, v2, v11
	v_mul_hi_u32 v14, v2, v8
	v_mul_hi_u32 v10, v3, v11
	v_mul_lo_u32 v11, v3, v11
	v_mul_hi_u32 v9, v3, v8
	v_add_co_u32_e32 v12, vcc, v13, v12
	v_addc_co_u32_e32 v13, vcc, 0, v14, vcc
	v_mul_lo_u32 v8, v3, v8
	v_add_co_u32_e32 v11, vcc, v12, v11
	v_addc_co_u32_e32 v10, vcc, v13, v10, vcc
	v_addc_co_u32_e32 v9, vcc, 0, v9, vcc
	v_add_co_u32_e32 v8, vcc, v10, v8
	v_addc_co_u32_e32 v9, vcc, 0, v9, vcc
	v_add_co_u32_e32 v8, vcc, v2, v8
	v_addc_co_u32_e32 v9, vcc, v3, v9, vcc
	v_mad_u64_u32 v[2:3], s[0:1], v6, v9, 0
	v_mul_hi_u32 v10, v6, v8
	v_add_co_u32_e32 v10, vcc, v10, v2
	v_addc_co_u32_e32 v11, vcc, 0, v3, vcc
	v_mad_u64_u32 v[2:3], s[0:1], v7, v8, 0
	v_mad_u64_u32 v[8:9], s[0:1], v7, v9, 0
	v_add_co_u32_e32 v2, vcc, v10, v2
	v_addc_co_u32_e32 v2, vcc, v11, v3, vcc
	v_addc_co_u32_e32 v3, vcc, 0, v9, vcc
	v_add_co_u32_e32 v8, vcc, v2, v8
	v_addc_co_u32_e32 v9, vcc, 0, v3, vcc
	v_mul_lo_u32 v10, s25, v8
	v_mul_lo_u32 v11, s24, v9
	v_mad_u64_u32 v[2:3], s[0:1], s24, v8, 0
	v_add3_u32 v3, v3, v11, v10
	v_sub_u32_e32 v10, v7, v3
	v_mov_b32_e32 v11, s25
	v_sub_co_u32_e32 v2, vcc, v6, v2
	v_subb_co_u32_e64 v10, s[0:1], v10, v11, vcc
	v_subrev_co_u32_e64 v11, s[0:1], s24, v2
	v_subbrev_co_u32_e64 v10, s[0:1], 0, v10, s[0:1]
	v_cmp_le_u32_e64 s[0:1], s25, v10
	v_cndmask_b32_e64 v12, 0, -1, s[0:1]
	v_cmp_le_u32_e64 s[0:1], s24, v11
	v_cndmask_b32_e64 v11, 0, -1, s[0:1]
	v_cmp_eq_u32_e64 s[0:1], s25, v10
	v_cndmask_b32_e64 v10, v12, v11, s[0:1]
	v_add_co_u32_e64 v11, s[0:1], 2, v8
	v_addc_co_u32_e64 v12, s[0:1], 0, v9, s[0:1]
	v_add_co_u32_e64 v13, s[0:1], 1, v8
	v_addc_co_u32_e64 v14, s[0:1], 0, v9, s[0:1]
	v_subb_co_u32_e32 v3, vcc, v7, v3, vcc
	v_cmp_ne_u32_e64 s[0:1], 0, v10
	v_cmp_le_u32_e32 vcc, s25, v3
	v_cndmask_b32_e64 v10, v14, v12, s[0:1]
	v_cndmask_b32_e64 v12, 0, -1, vcc
	v_cmp_le_u32_e32 vcc, s24, v2
	v_cndmask_b32_e64 v2, 0, -1, vcc
	v_cmp_eq_u32_e32 vcc, s25, v3
	v_cndmask_b32_e32 v2, v12, v2, vcc
	v_cmp_ne_u32_e32 vcc, 0, v2
	v_cndmask_b32_e64 v2, v13, v11, s[0:1]
	v_cndmask_b32_e32 v147, v9, v10, vcc
	v_cndmask_b32_e32 v146, v8, v2, vcc
.LBB0_4:                                ;   in Loop: Header=BB0_2 Depth=1
	s_andn2_saveexec_b64 s[0:1], s[26:27]
	s_cbranch_execz .LBB0_6
; %bb.5:                                ;   in Loop: Header=BB0_2 Depth=1
	v_cvt_f32_u32_e32 v2, s24
	s_sub_i32 s26, 0, s24
	v_mov_b32_e32 v147, v1
	v_rcp_iflag_f32_e32 v2, v2
	v_mul_f32_e32 v2, 0x4f7ffffe, v2
	v_cvt_u32_f32_e32 v2, v2
	v_mul_lo_u32 v3, s26, v2
	v_mul_hi_u32 v3, v2, v3
	v_add_u32_e32 v2, v2, v3
	v_mul_hi_u32 v2, v6, v2
	v_mul_lo_u32 v3, v2, s24
	v_add_u32_e32 v8, 1, v2
	v_sub_u32_e32 v3, v6, v3
	v_subrev_u32_e32 v9, s24, v3
	v_cmp_le_u32_e32 vcc, s24, v3
	v_cndmask_b32_e32 v3, v3, v9, vcc
	v_cndmask_b32_e32 v2, v2, v8, vcc
	v_add_u32_e32 v8, 1, v2
	v_cmp_le_u32_e32 vcc, s24, v3
	v_cndmask_b32_e32 v146, v2, v8, vcc
.LBB0_6:                                ;   in Loop: Header=BB0_2 Depth=1
	s_or_b64 exec, exec, s[0:1]
	v_mul_lo_u32 v8, v147, s24
	v_mul_lo_u32 v9, v146, s25
	v_mad_u64_u32 v[2:3], s[0:1], v146, s24, 0
	s_load_dwordx2 s[0:1], s[6:7], 0x0
	s_load_dwordx2 s[24:25], s[2:3], 0x0
	v_add3_u32 v3, v3, v9, v8
	v_sub_co_u32_e32 v2, vcc, v6, v2
	v_subb_co_u32_e32 v3, vcc, v7, v3, vcc
	s_waitcnt lgkmcnt(0)
	v_mul_lo_u32 v6, s0, v3
	v_mul_lo_u32 v7, s1, v2
	v_mad_u64_u32 v[4:5], s[0:1], s0, v2, v[4:5]
	v_mul_lo_u32 v3, s24, v3
	v_mul_lo_u32 v8, s25, v2
	v_mad_u64_u32 v[144:145], s[0:1], s24, v2, v[144:145]
	s_add_u32 s22, s22, 1
	s_addc_u32 s23, s23, 0
	s_add_u32 s2, s2, 8
	v_add3_u32 v145, v8, v145, v3
	s_addc_u32 s3, s3, 0
	v_mov_b32_e32 v2, s10
	s_add_u32 s6, s6, 8
	v_mov_b32_e32 v3, s11
	s_addc_u32 s7, s7, 0
	v_cmp_ge_u64_e32 vcc, s[22:23], v[2:3]
	s_add_u32 s20, s20, 8
	v_add3_u32 v5, v7, v5, v6
	s_addc_u32 s21, s21, 0
	s_cbranch_vccnz .LBB0_9
; %bb.7:                                ;   in Loop: Header=BB0_2 Depth=1
	v_mov_b32_e32 v6, v146
	v_mov_b32_e32 v7, v147
	s_branch .LBB0_2
.LBB0_8:
	v_mov_b32_e32 v145, v5
	v_mov_b32_e32 v147, v7
	;; [unrolled: 1-line block ×4, first 2 shown]
.LBB0_9:
	s_load_dwordx2 s[0:1], s[4:5], 0x28
	s_lshl_b64 s[6:7], s[10:11], 3
	s_add_u32 s2, s18, s6
	s_addc_u32 s3, s19, s7
                                        ; implicit-def: $vgpr162
	s_waitcnt lgkmcnt(0)
	v_cmp_gt_u64_e32 vcc, s[0:1], v[146:147]
	v_cmp_le_u64_e64 s[0:1], s[0:1], v[146:147]
	s_and_saveexec_b64 s[4:5], s[0:1]
	s_xor_b64 s[0:1], exec, s[4:5]
; %bb.10:
	s_mov_b32 s4, 0x4104105
	v_mul_hi_u32 v1, v0, s4
                                        ; implicit-def: $vgpr4_vgpr5
	v_mul_u32_u24_e32 v1, 63, v1
	v_sub_u32_e32 v162, v0, v1
                                        ; implicit-def: $vgpr0
; %bb.11:
	s_or_saveexec_b64 s[4:5], s[0:1]
                                        ; implicit-def: $vgpr94_vgpr95
                                        ; implicit-def: $vgpr86_vgpr87
                                        ; implicit-def: $vgpr82_vgpr83
                                        ; implicit-def: $vgpr90_vgpr91
                                        ; implicit-def: $vgpr46_vgpr47
                                        ; implicit-def: $vgpr42_vgpr43
                                        ; implicit-def: $vgpr50_vgpr51
                                        ; implicit-def: $vgpr54_vgpr55
                                        ; implicit-def: $vgpr66_vgpr67
                                        ; implicit-def: $vgpr58_vgpr59
                                        ; implicit-def: $vgpr70_vgpr71
                                        ; implicit-def: $vgpr74_vgpr75
                                        ; implicit-def: $vgpr62_vgpr63
                                        ; implicit-def: $vgpr78_vgpr79
                                        ; implicit-def: $vgpr28_vgpr29
                                        ; implicit-def: $vgpr98_vgpr99
                                        ; implicit-def: $vgpr102_vgpr103
                                        ; implicit-def: $vgpr18_vgpr19
                                        ; implicit-def: $vgpr36_vgpr37
                                        ; implicit-def: $vgpr10_vgpr11
                                        ; implicit-def: $vgpr22_vgpr23
                                        ; implicit-def: $vgpr106_vgpr107
                                        ; implicit-def: $vgpr14_vgpr15
                                        ; implicit-def: $vgpr6_vgpr7
                                        ; implicit-def: $vgpr110_vgpr111
                                        ; implicit-def: $vgpr32_vgpr33
                                        ; implicit-def: $vgpr2_vgpr3
	s_xor_b64 exec, exec, s[4:5]
	s_cbranch_execz .LBB0_13
; %bb.12:
	s_add_u32 s0, s16, s6
	s_addc_u32 s1, s17, s7
	s_load_dwordx2 s[0:1], s[0:1], 0x0
	s_mov_b32 s6, 0x4104105
	v_mul_hi_u32 v3, v0, s6
	s_waitcnt lgkmcnt(0)
	v_mul_lo_u32 v6, s1, v146
	v_mul_lo_u32 v7, s0, v147
	v_mad_u64_u32 v[1:2], s[0:1], s0, v146, 0
	v_mul_u32_u24_e32 v3, 63, v3
	v_sub_u32_e32 v162, v0, v3
	v_add3_u32 v2, v2, v7, v6
	v_lshlrev_b64 v[0:1], 4, v[1:2]
	v_mov_b32_e32 v2, s13
	v_add_co_u32_e64 v3, s[0:1], s12, v0
	v_addc_co_u32_e64 v2, s[0:1], v2, v1, s[0:1]
	v_lshlrev_b64 v[0:1], 4, v[4:5]
	v_add_co_u32_e64 v0, s[0:1], v3, v0
	v_addc_co_u32_e64 v1, s[0:1], v2, v1, s[0:1]
	v_lshlrev_b32_e32 v2, 4, v162
	v_add_co_u32_e64 v24, s[0:1], v0, v2
	v_addc_co_u32_e64 v25, s[0:1], 0, v1, s[0:1]
	s_movk_i32 s0, 0x2000
	v_add_co_u32_e64 v38, s[0:1], s0, v24
	v_addc_co_u32_e64 v39, s[0:1], 0, v25, s[0:1]
	s_movk_i32 s0, 0x4000
	;; [unrolled: 3-line block ×6, first 2 shown]
	global_load_dwordx4 v[0:3], v[24:25], off
	global_load_dwordx4 v[4:7], v[24:25], off offset:1008
	global_load_dwordx4 v[12:15], v[38:39], off offset:1888
	;; [unrolled: 1-line block ×7, first 2 shown]
	v_add_co_u32_e64 v24, s[0:1], s0, v24
	v_addc_co_u32_e64 v25, s[0:1], 0, v25, s[0:1]
	global_load_dwordx4 v[60:63], v[80:81], off offset:1696
	global_load_dwordx4 v[56:59], v[80:81], off offset:2704
	;; [unrolled: 1-line block ×15, first 2 shown]
                                        ; kill: killed $vgpr82 killed $vgpr83
                                        ; kill: killed $vgpr80 killed $vgpr81
                                        ; kill: killed $vgpr38 killed $vgpr39
	global_load_dwordx4 v[84:87], v[112:113], off offset:752
	global_load_dwordx4 v[80:83], v[114:115], off offset:3968
	global_load_dwordx4 v[88:91], v[24:25], off offset:624
	global_load_dwordx4 v[92:95], v[24:25], off offset:1632
.LBB0_13:
	s_or_b64 exec, exec, s[4:5]
	s_waitcnt vmcnt(7)
	v_add_f64 v[24:25], v[34:35], v[8:9]
	s_waitcnt vmcnt(6)
	v_add_f64 v[116:117], v[108:109], v[30:31]
	v_add_f64 v[38:39], v[36:37], v[10:11]
	;; [unrolled: 1-line block ×4, first 2 shown]
	s_waitcnt vmcnt(5)
	v_add_f64 v[118:119], v[104:105], v[12:13]
	v_add_f64 v[151:152], v[8:9], -v[34:35]
	v_add_f64 v[8:9], v[30:31], v[0:1]
	v_fma_f64 v[20:21], v[24:25], -0.5, v[20:21]
	v_add_f64 v[24:25], v[32:33], -v[110:111]
	v_fma_f64 v[0:1], v[116:117], -0.5, v[0:1]
	v_add_f64 v[10:11], v[10:11], -v[36:37]
	v_fma_f64 v[149:150], v[38:39], -0.5, v[22:23]
	v_add_f64 v[22:23], v[34:35], v[112:113]
	v_add_f64 v[153:154], v[36:37], v[114:115]
	;; [unrolled: 1-line block ×3, first 2 shown]
	v_fma_f64 v[4:5], v[118:119], -0.5, v[4:5]
	v_add_f64 v[36:37], v[14:15], -v[106:107]
	s_mov_b32 s4, 0xe8584caa
	s_mov_b32 s5, 0xbfebb67a
	s_waitcnt vmcnt(4)
	v_add_f64 v[112:113], v[96:97], v[100:101]
	v_add_f64 v[8:9], v[108:109], v[8:9]
	v_fma_f64 v[38:39], v[24:25], s[4:5], v[0:1]
	v_add_f64 v[34:35], v[104:105], v[34:35]
	s_mov_b32 s7, 0x3febb67a
	v_fma_f64 v[114:115], v[36:37], s[4:5], v[4:5]
	s_mov_b32 s6, s4
	v_mad_u32_u24 v155, v162, 24, 0
	v_fma_f64 v[0:1], v[24:25], s[6:7], v[0:1]
	v_fma_f64 v[4:5], v[36:37], s[6:7], v[4:5]
	v_add_f64 v[36:37], v[100:101], v[16:17]
	v_fma_f64 v[16:17], v[112:113], -0.5, v[16:17]
	v_add_f64 v[112:113], v[102:103], -v[98:99]
	v_fma_f64 v[24:25], v[10:11], s[4:5], v[20:21]
	ds_write2_b64 v155, v[8:9], v[38:39] offset1:1
	ds_write2_b64 v155, v[34:35], v[114:115] offset0:189 offset1:190
	v_add_f64 v[8:9], v[60:61], v[76:77]
	v_add_u32_e32 v156, 0xbd0, v155
	ds_write2_b64 v155, v[0:1], v[4:5] offset0:2 offset1:191
	v_add_f64 v[0:1], v[96:97], v[36:37]
	v_add_u32_e32 v157, 0x11b8, v155
	v_fma_f64 v[4:5], v[112:113], s[4:5], v[16:17]
	ds_write2_b64 v156, v[22:23], v[24:25] offset1:1
	v_add_f64 v[22:23], v[76:77], v[26:27]
	v_fma_f64 v[8:9], v[8:9], -0.5, v[26:27]
	v_add_f64 v[24:25], v[78:79], -v[62:63]
	v_add_f64 v[26:27], v[56:57], v[68:69]
	v_fma_f64 v[10:11], v[10:11], s[6:7], v[20:21]
	v_fma_f64 v[16:17], v[112:113], s[6:7], v[16:17]
	ds_write2_b64 v157, v[0:1], v[4:5] offset1:1
	v_add_f64 v[4:5], v[68:69], v[72:73]
	v_add_f64 v[0:1], v[60:61], v[22:23]
	v_add_u32_e32 v158, 0xa00, v155
	v_fma_f64 v[20:21], v[24:25], s[4:5], v[8:9]
	v_fma_f64 v[22:23], v[26:27], -0.5, v[72:73]
	v_add_f64 v[26:27], v[70:71], -v[58:59]
	ds_write2_b64 v158, v[10:11], v[16:17] offset0:60 offset1:249
	v_add_u32_e32 v159, 0x17a0, v155
	v_fma_f64 v[8:9], v[24:25], s[6:7], v[8:9]
	v_add_f64 v[4:5], v[56:57], v[4:5]
	v_add_f64 v[10:11], v[48:49], v[52:53]
	ds_write2_b64 v159, v[0:1], v[20:21] offset1:1
	v_add_f64 v[20:21], v[52:53], v[64:65]
	v_fma_f64 v[0:1], v[26:27], s[4:5], v[22:23]
	v_fma_f64 v[16:17], v[26:27], s[6:7], v[22:23]
	v_add_u32_e32 v160, 0x1600, v155
	s_waitcnt vmcnt(1)
	v_add_f64 v[22:23], v[88:89], v[44:45]
	ds_write2_b64 v160, v[8:9], v[4:5] offset0:54 offset1:241
	v_fma_f64 v[4:5], v[10:11], -0.5, v[64:65]
	v_add_f64 v[8:9], v[54:55], -v[50:51]
	v_add_u32_e32 v161, 0x1d90, v155
	s_waitcnt vmcnt(0)
	v_add_f64 v[10:11], v[92:93], v[84:85]
	ds_write2_b64 v161, v[0:1], v[16:17] offset1:1
	v_add_f64 v[0:1], v[48:49], v[20:21]
	v_add_f64 v[20:21], v[44:45], v[40:41]
	v_fma_f64 v[16:17], v[22:23], -0.5, v[40:41]
	v_add_f64 v[22:23], v[46:47], -v[90:91]
	v_fma_f64 v[24:25], v[8:9], s[4:5], v[4:5]
	v_add_f64 v[26:27], v[84:85], v[80:81]
	v_fma_f64 v[10:11], v[10:11], -0.5, v[80:81]
	v_add_f64 v[34:35], v[86:87], -v[94:95]
	v_fma_f64 v[4:5], v[8:9], s[6:7], v[4:5]
	ds_write_b64 v155, v[0:1] offset:9072
	v_add_f64 v[0:1], v[88:89], v[20:21]
	v_fma_f64 v[8:9], v[22:23], s[4:5], v[16:17]
	v_fma_f64 v[16:17], v[22:23], s[6:7], v[16:17]
	v_add_u32_e32 v163, 0x2378, v155
	v_add_f64 v[20:21], v[92:93], v[26:27]
	v_fma_f64 v[22:23], v[34:35], s[4:5], v[10:11]
	v_fma_f64 v[10:11], v[34:35], s[6:7], v[10:11]
	ds_write2_b64 v163, v[24:25], v[4:5] offset1:1
	ds_write_b64 v155, v[0:1] offset:10584
	v_fma_f64 v[4:5], v[151:152], s[6:7], v[149:150]
	v_add_u32_e32 v164, 0x2960, v155
	v_lshl_add_u32 v165, v162, 3, 0
	ds_write2_b64 v164, v[8:9], v[16:17] offset1:1
	ds_write_b64 v155, v[20:21] offset:12096
	v_add_u32_e32 v174, 0x2f48, v155
	v_add_u32_e32 v172, 0x800, v165
	;; [unrolled: 1-line block ×3, first 2 shown]
	s_load_dwordx2 s[2:3], s[2:3], 0x0
	ds_write2_b64 v174, v[22:23], v[10:11] offset1:1
	s_waitcnt lgkmcnt(0)
	; wave barrier
	s_waitcnt lgkmcnt(0)
	v_add_u32_e32 v167, 0xc00, v165
	v_add_u32_e32 v166, 0x2000, v165
	;; [unrolled: 1-line block ×9, first 2 shown]
	ds_read_b64 v[0:1], v165 offset:13104
	ds_read2_b64 v[38:41], v165 offset1:63
	ds_read2_b64 v[8:11], v167 offset0:120 offset1:183
	ds_read2_b64 v[140:143], v166 offset0:110 offset1:173
	;; [unrolled: 1-line block ×12, first 2 shown]
	s_waitcnt lgkmcnt(0)
	; wave barrier
	s_waitcnt lgkmcnt(0)
	ds_write2_b64 v156, v[153:154], v[4:5] offset1:1
	v_add_f64 v[4:5], v[14:15], v[6:7]
	v_add_f64 v[14:15], v[106:107], v[14:15]
	;; [unrolled: 1-line block ×5, first 2 shown]
	v_add_f64 v[72:73], v[100:101], -v[96:97]
	v_add_f64 v[96:97], v[50:51], v[54:55]
	v_add_f64 v[12:13], v[12:13], -v[104:105]
	v_add_f64 v[56:57], v[68:69], -v[56:57]
	v_fma_f64 v[6:7], v[14:15], -0.5, v[6:7]
	v_add_f64 v[14:15], v[62:63], v[78:79]
	v_fma_f64 v[2:3], v[16:17], -0.5, v[2:3]
	v_add_f64 v[16:17], v[30:31], -v[108:109]
	v_add_f64 v[30:31], v[102:103], v[18:19]
	v_add_f64 v[78:79], v[78:79], v[28:29]
	v_fma_f64 v[18:19], v[64:65], -0.5, v[18:19]
	v_add_f64 v[64:65], v[70:71], v[74:75]
	v_add_f64 v[70:71], v[58:59], v[70:71]
	v_fma_f64 v[14:15], v[14:15], -0.5, v[28:29]
	v_add_f64 v[28:29], v[54:55], v[66:67]
	v_add_f64 v[32:33], v[110:111], v[32:33]
	v_fma_f64 v[68:69], v[16:17], s[6:7], v[2:3]
	v_add_f64 v[4:5], v[106:107], v[4:5]
	v_add_f64 v[54:55], v[76:77], -v[60:61]
	v_add_f64 v[58:59], v[58:59], v[64:65]
	v_fma_f64 v[64:65], v[96:97], -0.5, v[66:67]
	v_add_f64 v[66:67], v[94:95], v[86:87]
	v_add_f64 v[28:29], v[50:51], v[28:29]
	;; [unrolled: 1-line block ×5, first 2 shown]
	v_fma_f64 v[62:63], v[70:71], -0.5, v[74:75]
	v_fma_f64 v[70:71], v[12:13], s[6:7], v[6:7]
	v_fma_f64 v[2:3], v[16:17], s[4:5], v[2:3]
	;; [unrolled: 1-line block ×3, first 2 shown]
	v_add_f64 v[48:49], v[52:53], -v[48:49]
	v_add_f64 v[52:53], v[86:87], v[82:83]
	v_add_f64 v[30:31], v[98:99], v[30:31]
	v_add_f64 v[44:45], v[44:45], -v[88:89]
	v_add_f64 v[12:13], v[90:91], v[50:51]
	v_fma_f64 v[16:17], v[46:47], -0.5, v[42:43]
	v_add_f64 v[42:43], v[84:85], -v[92:93]
	v_fma_f64 v[50:51], v[66:67], -0.5, v[82:83]
	ds_write2_b64 v155, v[32:33], v[68:69] offset1:1
	ds_write2_b64 v155, v[4:5], v[70:71] offset0:189 offset1:190
	ds_write2_b64 v155, v[2:3], v[6:7] offset0:2 offset1:191
	v_fma_f64 v[4:5], v[72:73], s[6:7], v[18:19]
	v_fma_f64 v[2:3], v[151:152], s[4:5], v[149:150]
	;; [unrolled: 1-line block ×5, first 2 shown]
	v_add_f64 v[46:47], v[94:95], v[52:53]
	v_fma_f64 v[32:33], v[56:57], s[6:7], v[62:63]
	v_fma_f64 v[52:53], v[56:57], s[4:5], v[62:63]
	;; [unrolled: 1-line block ×4, first 2 shown]
	s_movk_i32 s0, 0xab
	v_fma_f64 v[56:57], v[44:45], s[6:7], v[16:17]
	v_fma_f64 v[16:17], v[44:45], s[4:5], v[16:17]
	;; [unrolled: 1-line block ×4, first 2 shown]
	ds_write2_b64 v157, v[30:31], v[4:5] offset1:1
	ds_write2_b64 v158, v[2:3], v[6:7] offset0:60 offset1:249
	ds_write2_b64 v159, v[60:61], v[18:19] offset1:1
	ds_write2_b64 v160, v[14:15], v[58:59] offset0:54 offset1:241
	ds_write2_b64 v161, v[32:33], v[52:53] offset1:1
	ds_write_b64 v155, v[28:29] offset:9072
	ds_write2_b64 v163, v[54:55], v[48:49] offset1:1
	ds_write_b64 v155, v[12:13] offset:10584
	;; [unrolled: 2-line block ×3, first 2 shown]
	ds_write2_b64 v174, v[44:45], v[42:43] offset1:1
	v_mul_lo_u16_sdwa v2, v162, s0 dst_sel:DWORD dst_unused:UNUSED_PAD src0_sel:BYTE_0 src1_sel:DWORD
	v_lshrrev_b16_e32 v7, 9, v2
	v_add_u32_e32 v82, 63, v162
	v_mul_lo_u16_e32 v2, 3, v7
	v_sub_u16_e32 v12, v162, v2
	v_mov_b32_e32 v78, 5
	v_mul_lo_u16_sdwa v2, v82, s0 dst_sel:DWORD dst_unused:UNUSED_PAD src0_sel:BYTE_0 src1_sel:DWORD
	v_lshlrev_b32_sdwa v54, v78, v12 dst_sel:DWORD dst_unused:UNUSED_PAD src0_sel:DWORD src1_sel:BYTE_0
	v_lshrrev_b16_e32 v2, 9, v2
	s_waitcnt lgkmcnt(0)
	; wave barrier
	s_waitcnt lgkmcnt(0)
	global_load_dwordx4 v[30:33], v54, s[8:9] offset:16
	v_mul_lo_u16_e32 v3, 3, v2
	v_sub_u16_e32 v3, v82, v3
	v_lshlrev_b32_sdwa v4, v78, v3 dst_sel:DWORD dst_unused:UNUSED_PAD src0_sel:DWORD src1_sel:BYTE_0
	global_load_dwordx4 v[42:45], v4, s[8:9] offset:16
	global_load_dwordx4 v[46:49], v4, s[8:9]
	v_add_u32_e32 v164, 0x7e, v162
	v_mul_lo_u16_sdwa v4, v164, s0 dst_sel:DWORD dst_unused:UNUSED_PAD src0_sel:BYTE_0 src1_sel:DWORD
	v_lshrrev_b16_e32 v6, 9, v4
	v_mul_lo_u16_e32 v4, 3, v6
	v_sub_u16_e32 v13, v164, v4
	v_lshlrev_b32_sdwa v4, v78, v13 dst_sel:DWORD dst_unused:UNUSED_PAD src0_sel:DWORD src1_sel:BYTE_0
	global_load_dwordx4 v[50:53], v4, s[8:9]
	global_load_dwordx4 v[56:59], v4, s[8:9] offset:16
	v_add_u32_e32 v163, 0xbd, v162
	v_mul_lo_u16_sdwa v4, v163, s0 dst_sel:DWORD dst_unused:UNUSED_PAD src0_sel:BYTE_0 src1_sel:DWORD
	v_lshrrev_b16_e32 v4, 9, v4
	v_mul_lo_u16_e32 v5, 3, v4
	v_sub_u16_e32 v5, v163, v5
	v_lshlrev_b32_sdwa v14, v78, v5 dst_sel:DWORD dst_unused:UNUSED_PAD src0_sel:DWORD src1_sel:BYTE_0
	global_load_dwordx4 v[60:63], v14, s[8:9] offset:16
	global_load_dwordx4 v[64:67], v14, s[8:9]
	v_add_u32_e32 v84, 0xfc, v162
	s_mov_b32 s0, 0xaaab
	v_mul_u32_u24_sdwa v14, v84, s0 dst_sel:DWORD dst_unused:UNUSED_PAD src0_sel:WORD_0 src1_sel:DWORD
	v_lshrrev_b32_e32 v14, 17, v14
	v_mul_lo_u16_e32 v15, 3, v14
	v_sub_u16_e32 v15, v84, v15
	v_lshlrev_b32_e32 v16, 5, v15
	global_load_dwordx4 v[68:71], v16, s[8:9]
	global_load_dwordx4 v[74:77], v16, s[8:9] offset:16
	v_add_u32_e32 v85, 0x13b, v162
	v_mul_u32_u24_sdwa v16, v85, s0 dst_sel:DWORD dst_unused:UNUSED_PAD src0_sel:WORD_0 src1_sel:DWORD
	v_lshrrev_b32_e32 v16, 17, v16
	v_mul_lo_u16_e32 v17, 3, v16
	v_sub_u16_e32 v17, v85, v17
	v_lshlrev_b32_e32 v18, 5, v17
	global_load_dwordx4 v[87:90], v18, s[8:9] offset:16
	global_load_dwordx4 v[91:94], v18, s[8:9]
	v_add_u32_e32 v83, 0x17a, v162
	v_mul_u32_u24_sdwa v18, v83, s0 dst_sel:DWORD dst_unused:UNUSED_PAD src0_sel:WORD_0 src1_sel:DWORD
	v_lshrrev_b32_e32 v28, 17, v18
	v_mul_lo_u16_e32 v18, 3, v28
	v_sub_u16_e32 v29, v83, v18
	v_lshlrev_b32_e32 v18, 5, v29
	v_add_u32_e32 v79, 0x1b9, v162
	global_load_dwordx4 v[95:98], v18, s[8:9]
	global_load_dwordx4 v[99:102], v18, s[8:9] offset:16
	v_mul_u32_u24_sdwa v18, v79, s0 dst_sel:DWORD dst_unused:UNUSED_PAD src0_sel:WORD_0 src1_sel:DWORD
	v_lshrrev_b32_e32 v18, 17, v18
	v_mul_lo_u16_e32 v19, 3, v18
	v_sub_u16_e32 v19, v79, v19
	v_lshlrev_b32_e32 v55, 5, v19
	global_load_dwordx4 v[103:106], v55, s[8:9] offset:16
	global_load_dwordx4 v[107:110], v54, s[8:9]
	global_load_dwordx4 v[149:152], v55, s[8:9]
	v_add_u32_e32 v86, 0x1f8, v162
	v_mul_u32_u24_sdwa v54, v86, s0 dst_sel:DWORD dst_unused:UNUSED_PAD src0_sel:WORD_0 src1_sel:DWORD
	v_lshrrev_b32_e32 v161, 17, v54
	v_mul_lo_u16_e32 v54, 3, v161
	v_sub_u16_e32 v184, v86, v54
	v_lshlrev_b32_e32 v54, 5, v184
	global_load_dwordx4 v[153:156], v54, s[8:9]
	global_load_dwordx4 v[174:177], v54, s[8:9] offset:16
	ds_read2_b64 v[157:160], v166 offset0:110 offset1:173
	ds_read2_b64 v[178:181], v169 offset0:118 offset1:181
	v_mul_u32_u24_e32 v6, 0x48, v6
	v_mul_u32_u24_e32 v16, 0x48, v16
	v_lshlrev_b32_e32 v17, 3, v17
	v_mul_u32_u24_e32 v18, 0x48, v18
	v_lshlrev_b32_e32 v19, 3, v19
	s_mov_b32 s0, 0xe38f
	s_waitcnt vmcnt(17) lgkmcnt(1)
	v_mul_f64 v[54:55], v[157:158], v[32:33]
	v_mul_f64 v[32:33], v[140:141], v[32:33]
	s_waitcnt vmcnt(16)
	v_mul_f64 v[72:73], v[159:160], v[44:45]
	v_mul_f64 v[44:45], v[142:143], v[44:45]
	s_waitcnt vmcnt(15) lgkmcnt(0)
	v_mul_f64 v[182:183], v[178:179], v[48:49]
	v_mul_f64 v[48:49], v[136:137], v[48:49]
	v_fma_f64 v[140:141], v[140:141], v[30:31], v[54:55]
	v_fma_f64 v[157:158], v[157:158], v[30:31], -v[32:33]
	ds_read2_b64 v[30:33], v168 offset0:108 offset1:171
	v_fma_f64 v[142:143], v[142:143], v[42:43], v[72:73]
	s_waitcnt vmcnt(14)
	v_mul_f64 v[72:73], v[180:181], v[52:53]
	v_mul_f64 v[52:53], v[138:139], v[52:53]
	v_fma_f64 v[54:55], v[159:160], v[42:43], -v[44:45]
	v_fma_f64 v[136:137], v[136:137], v[46:47], v[182:183]
	v_fma_f64 v[159:160], v[178:179], v[46:47], -v[48:49]
	s_waitcnt vmcnt(13) lgkmcnt(0)
	v_mul_f64 v[46:47], v[30:31], v[58:59]
	ds_read2_b64 v[42:45], v148 offset0:116 offset1:179
	v_mul_f64 v[48:49], v[132:133], v[58:59]
	v_fma_f64 v[138:139], v[138:139], v[50:51], v[72:73]
	v_fma_f64 v[180:181], v[180:181], v[50:51], -v[52:53]
	s_waitcnt vmcnt(12)
	v_mul_f64 v[178:179], v[32:33], v[62:63]
	s_waitcnt vmcnt(11) lgkmcnt(0)
	v_mul_f64 v[50:51], v[42:43], v[66:67]
	v_mul_f64 v[62:63], v[134:135], v[62:63]
	v_fma_f64 v[132:133], v[132:133], v[56:57], v[46:47]
	v_mul_f64 v[46:47], v[124:125], v[66:67]
	s_waitcnt vmcnt(10)
	v_mul_f64 v[52:53], v[44:45], v[70:71]
	v_fma_f64 v[58:59], v[30:31], v[56:57], -v[48:49]
	v_fma_f64 v[66:67], v[134:135], v[60:61], v[178:179]
	v_fma_f64 v[72:73], v[124:125], v[64:65], v[50:51]
	v_mul_f64 v[50:51], v[126:127], v[70:71]
	v_fma_f64 v[56:57], v[32:33], v[60:61], -v[62:63]
	ds_read2_b64 v[30:33], v171 offset0:106 offset1:169
	v_fma_f64 v[124:125], v[42:43], v[64:65], -v[46:47]
	ds_read2_b64 v[46:49], v170 offset0:114 offset1:177
	s_waitcnt vmcnt(9)
	v_mul_f64 v[60:61], v[120:121], v[76:77]
	v_fma_f64 v[64:65], v[126:127], v[68:69], v[52:53]
	s_waitcnt lgkmcnt(1)
	v_mul_f64 v[42:43], v[30:31], v[76:77]
	s_waitcnt vmcnt(8)
	v_mul_f64 v[76:77], v[32:33], v[89:90]
	v_mul_f64 v[89:90], v[122:123], v[89:90]
	v_fma_f64 v[126:127], v[44:45], v[68:69], -v[50:51]
	s_waitcnt vmcnt(7) lgkmcnt(0)
	v_mul_f64 v[44:45], v[46:47], v[93:94]
	v_mul_f64 v[50:51], v[116:117], v[93:94]
	v_fma_f64 v[62:63], v[30:31], v[74:75], -v[60:61]
	s_waitcnt vmcnt(6)
	v_mul_f64 v[52:53], v[48:49], v[97:98]
	v_fma_f64 v[70:71], v[120:121], v[74:75], v[42:43]
	v_fma_f64 v[68:69], v[122:123], v[87:88], v[76:77]
	v_fma_f64 v[60:61], v[32:33], v[87:88], -v[89:90]
	ds_read2_b64 v[30:33], v81 offset0:104 offset1:167
	v_fma_f64 v[74:75], v[116:117], v[91:92], v[44:45]
	ds_read2_b64 v[42:45], v167 offset0:120 offset1:183
	v_fma_f64 v[93:94], v[46:47], v[91:92], -v[50:51]
	s_waitcnt vmcnt(5)
	v_mul_f64 v[87:88], v[128:129], v[101:102]
	s_waitcnt lgkmcnt(1)
	v_mul_f64 v[76:77], v[30:31], v[101:102]
	v_mul_f64 v[46:47], v[118:119], v[97:98]
	s_waitcnt vmcnt(3) lgkmcnt(0)
	v_mul_f64 v[91:92], v[44:45], v[109:110]
	v_fma_f64 v[97:98], v[118:119], v[95:96], v[52:53]
	ds_read2_b64 v[50:53], v173 offset0:112 offset1:175
	v_mul_f64 v[89:90], v[32:33], v[105:106]
	v_mul_f64 v[101:102], v[130:131], v[105:106]
	v_add_f64 v[122:123], v[136:137], v[142:143]
	v_fma_f64 v[105:106], v[128:129], v[99:100], v[76:77]
	v_fma_f64 v[76:77], v[30:31], v[99:100], -v[87:88]
	s_waitcnt vmcnt(2) lgkmcnt(0)
	v_mul_f64 v[30:31], v[50:51], v[151:152]
	v_fma_f64 v[116:117], v[10:11], v[107:108], v[91:92]
	v_mul_f64 v[10:11], v[10:11], v[109:110]
	v_fma_f64 v[99:100], v[130:131], v[103:104], v[89:90]
	v_fma_f64 v[101:102], v[32:33], v[103:104], -v[101:102]
	v_mul_f64 v[32:33], v[112:113], v[151:152]
	v_fma_f64 v[95:96], v[48:49], v[95:96], -v[46:47]
	ds_read_b64 v[48:49], v165 offset:13104
	v_fma_f64 v[103:104], v[112:113], v[149:150], v[30:31]
	v_add_f64 v[30:31], v[116:117], v[140:141]
	v_fma_f64 v[10:11], v[44:45], v[107:108], -v[10:11]
	s_waitcnt vmcnt(1)
	v_mul_f64 v[46:47], v[52:53], v[155:156]
	s_waitcnt vmcnt(0) lgkmcnt(0)
	v_mul_f64 v[44:45], v[48:49], v[176:177]
	v_fma_f64 v[107:108], v[50:51], v[149:150], -v[32:33]
	v_add_f64 v[32:33], v[38:39], v[116:117]
	v_mov_b32_e32 v92, 3
	v_mul_f64 v[87:88], v[114:115], v[155:156]
	v_fma_f64 v[38:39], v[30:31], -0.5, v[38:39]
	v_add_f64 v[111:112], v[10:11], -v[157:158]
	v_mul_f64 v[89:90], v[0:1], v[176:177]
	v_fma_f64 v[109:110], v[114:115], v[153:154], v[46:47]
	v_fma_f64 v[113:114], v[0:1], v[174:175], v[44:45]
	v_mul_u32_u24_e32 v0, 0x48, v7
	v_lshlrev_b32_sdwa v1, v92, v12 dst_sel:DWORD dst_unused:UNUSED_PAD src0_sel:DWORD src1_sel:BYTE_0
	v_add3_u32 v91, 0, v0, v1
	v_add_f64 v[0:1], v[32:33], v[140:141]
	v_fma_f64 v[120:121], v[111:112], s[4:5], v[38:39]
	v_fma_f64 v[52:53], v[52:53], v[153:154], -v[87:88]
	v_fma_f64 v[118:119], v[48:49], v[174:175], -v[89:90]
	ds_read2_b64 v[30:33], v165 offset1:63
	ds_read2_b64 v[44:47], v165 offset0:126 offset1:189
	ds_read2_b64 v[48:51], v80 offset0:124 offset1:187
	;; [unrolled: 1-line block ×3, first 2 shown]
	s_waitcnt lgkmcnt(0)
	; wave barrier
	s_waitcnt lgkmcnt(0)
	v_fma_f64 v[38:39], v[111:112], s[6:7], v[38:39]
	ds_write2_b64 v91, v[0:1], v[120:121] offset1:3
	v_add_f64 v[0:1], v[10:11], v[157:158]
	v_add_f64 v[120:121], v[159:160], v[54:55]
	v_fma_f64 v[111:112], v[122:123], -0.5, v[40:41]
	v_add_f64 v[122:123], v[138:139], v[132:133]
	v_add_f64 v[40:41], v[40:41], v[136:137]
	v_add_f64 v[128:129], v[159:160], -v[54:55]
	v_add_f64 v[10:11], v[30:31], v[10:11]
	v_add_f64 v[134:135], v[32:33], v[159:160]
	v_fma_f64 v[130:131], v[0:1], -0.5, v[30:31]
	v_fma_f64 v[120:121], v[120:121], -0.5, v[32:33]
	v_add_f64 v[0:1], v[34:35], v[138:139]
	v_fma_f64 v[30:31], v[122:123], -0.5, v[34:35]
	v_add_f64 v[32:33], v[180:181], -v[58:59]
	v_add_f64 v[34:35], v[40:41], v[142:143]
	v_fma_f64 v[40:41], v[128:129], s[4:5], v[111:112]
	v_fma_f64 v[111:112], v[128:129], s[6:7], v[111:112]
	v_mul_u32_u24_e32 v7, 0x48, v2
	v_lshlrev_b32_sdwa v12, v92, v3 dst_sel:DWORD dst_unused:UNUSED_PAD src0_sel:DWORD src1_sel:BYTE_0
	v_add_f64 v[0:1], v[0:1], v[132:133]
	v_add3_u32 v159, 0, v7, v12
	v_fma_f64 v[2:3], v[32:33], s[4:5], v[30:31]
	ds_write_b64 v91, v[38:39] offset:48
	ds_write2_b64 v159, v[34:35], v[40:41] offset1:3
	ds_write_b64 v159, v[111:112] offset:48
	v_add_f64 v[34:35], v[72:73], v[66:67]
	v_lshlrev_b32_sdwa v7, v92, v13 dst_sel:DWORD dst_unused:UNUSED_PAD src0_sel:DWORD src1_sel:BYTE_0
	v_add3_u32 v160, 0, v6, v7
	v_fma_f64 v[6:7], v[32:33], s[6:7], v[30:31]
	v_add_f64 v[30:31], v[64:65], v[70:71]
	ds_write2_b64 v160, v[0:1], v[2:3] offset1:3
	v_add_f64 v[0:1], v[180:181], v[58:59]
	v_add_f64 v[2:3], v[124:125], v[56:57]
	v_fma_f64 v[12:13], v[34:35], -0.5, v[36:37]
	v_add_f64 v[32:33], v[36:37], v[72:73]
	v_add_f64 v[34:35], v[124:125], -v[56:57]
	ds_write_b64 v160, v[6:7] offset:48
	v_mul_u32_u24_e32 v6, 0x48, v4
	v_lshlrev_b32_sdwa v7, v92, v5 dst_sel:DWORD dst_unused:UNUSED_PAD src0_sel:DWORD src1_sel:BYTE_0
	v_fma_f64 v[122:123], v[0:1], -0.5, v[44:45]
	v_fma_f64 v[128:129], v[2:3], -0.5, v[46:47]
	v_add_f64 v[0:1], v[24:25], v[64:65]
	v_fma_f64 v[2:3], v[30:31], -0.5, v[24:25]
	v_add_f64 v[24:25], v[126:127], -v[62:63]
	v_add_f64 v[30:31], v[32:33], v[66:67]
	v_fma_f64 v[32:33], v[34:35], s[4:5], v[12:13]
	v_fma_f64 v[12:13], v[34:35], s[6:7], v[12:13]
	v_add3_u32 v174, 0, v6, v7
	v_add_f64 v[6:7], v[74:75], v[68:69]
	v_add_f64 v[0:1], v[0:1], v[70:71]
	ds_write2_b64 v174, v[30:31], v[32:33] offset1:3
	ds_write_b64 v174, v[12:13] offset:48
	v_fma_f64 v[4:5], v[24:25], s[4:5], v[2:3]
	v_mul_u32_u24_e32 v12, 0x48, v14
	v_lshlrev_b32_e32 v13, 3, v15
	v_add3_u32 v175, 0, v12, v13
	v_fma_f64 v[2:3], v[24:25], s[6:7], v[2:3]
	v_fma_f64 v[6:7], v[6:7], -0.5, v[26:27]
	v_add_f64 v[12:13], v[97:98], v[105:106]
	v_add_f64 v[14:15], v[26:27], v[74:75]
	ds_write2_b64 v175, v[0:1], v[4:5] offset1:3
	v_add_f64 v[0:1], v[126:127], v[62:63]
	v_add_f64 v[4:5], v[93:94], v[60:61]
	v_add_f64 v[24:25], v[93:94], -v[60:61]
	v_add3_u32 v176, 0, v16, v17
	ds_write_b64 v175, v[2:3] offset:48
	v_add_f64 v[16:17], v[109:110], v[113:114]
	v_add_f64 v[14:15], v[14:15], v[68:69]
	v_add_f64 v[115:116], v[116:117], -v[140:141]
	v_fma_f64 v[149:150], v[0:1], -0.5, v[48:49]
	v_fma_f64 v[151:152], v[4:5], -0.5, v[50:51]
	v_add_f64 v[0:1], v[20:21], v[97:98]
	v_fma_f64 v[4:5], v[12:13], -0.5, v[20:21]
	v_add_f64 v[12:13], v[95:96], -v[76:77]
	v_fma_f64 v[20:21], v[24:25], s[4:5], v[6:7]
	v_fma_f64 v[6:7], v[24:25], s[6:7], v[6:7]
	ds_write2_b64 v176, v[14:15], v[20:21] offset1:3
	ds_write_b64 v176, v[6:7] offset:48
	v_add_f64 v[0:1], v[0:1], v[105:106]
	v_fma_f64 v[2:3], v[12:13], s[4:5], v[4:5]
	v_add_f64 v[6:7], v[103:104], v[99:100]
	v_mul_u32_u24_e32 v14, 0x48, v28
	v_lshlrev_b32_e32 v15, 3, v29
	v_add3_u32 v177, 0, v14, v15
	v_fma_f64 v[4:5], v[12:13], s[6:7], v[4:5]
	v_add_f64 v[12:13], v[22:23], v[103:104]
	v_add_f64 v[14:15], v[107:108], -v[101:102]
	ds_write2_b64 v177, v[0:1], v[2:3] offset1:3
	v_add_f64 v[0:1], v[95:96], v[76:77]
	v_add_f64 v[2:3], v[107:108], v[101:102]
	v_fma_f64 v[6:7], v[6:7], -0.5, v[22:23]
	v_add_f64 v[95:96], v[87:88], v[95:96]
	ds_write_b64 v177, v[4:5] offset:48
	v_fma_f64 v[4:5], v[16:17], -0.5, v[8:9]
	v_add_f64 v[8:9], v[8:9], v[109:110]
	v_add_f64 v[111:112], v[44:45], v[180:181]
	v_fma_f64 v[87:88], v[0:1], -0.5, v[87:88]
	v_fma_f64 v[153:154], v[2:3], -0.5, v[89:90]
	v_add_f64 v[0:1], v[12:13], v[99:100]
	v_fma_f64 v[2:3], v[14:15], s[4:5], v[6:7]
	v_add_f64 v[12:13], v[52:53], -v[118:119]
	v_add_f64 v[136:137], v[136:137], -v[142:143]
	;; [unrolled: 1-line block ×3, first 2 shown]
	v_add_f64 v[124:125], v[46:47], v[124:125]
	v_add_f64 v[66:67], v[72:73], -v[66:67]
	v_fma_f64 v[6:7], v[14:15], s[6:7], v[6:7]
	v_add3_u32 v178, 0, v18, v19
	v_add_f64 v[16:17], v[52:53], v[118:119]
	ds_write2_b64 v178, v[0:1], v[2:3] offset1:3
	v_add_f64 v[0:1], v[8:9], v[113:114]
	v_fma_f64 v[2:3], v[12:13], s[4:5], v[4:5]
	v_fma_f64 v[4:5], v[12:13], s[6:7], v[4:5]
	v_add_f64 v[157:158], v[10:11], v[157:158]
	v_fma_f64 v[138:139], v[115:116], s[6:7], v[130:131]
	v_fma_f64 v[115:116], v[115:116], s[4:5], v[130:131]
	v_add_f64 v[54:55], v[134:135], v[54:55]
	v_fma_f64 v[72:73], v[136:137], s[6:7], v[120:121]
	v_add_f64 v[58:59], v[111:112], v[58:59]
	v_fma_f64 v[111:112], v[132:133], s[6:7], v[122:123]
	v_fma_f64 v[120:121], v[136:137], s[4:5], v[120:121]
	v_fma_f64 v[122:123], v[132:133], s[4:5], v[122:123]
	v_add_f64 v[56:57], v[124:125], v[56:57]
	v_fma_f64 v[124:125], v[66:67], s[6:7], v[128:129]
	ds_write_b64 v178, v[6:7] offset:48
	v_mul_u32_u24_e32 v6, 0x48, v161
	v_lshlrev_b32_e32 v7, 3, v184
	v_add3_u32 v161, 0, v6, v7
	v_add_f64 v[126:127], v[48:49], v[126:127]
	v_add_f64 v[93:94], v[50:51], v[93:94]
	;; [unrolled: 1-line block ×3, first 2 shown]
	v_fma_f64 v[107:108], v[16:17], -0.5, v[42:43]
	v_add_f64 v[155:156], v[42:43], v[52:53]
	ds_write2_b64 v161, v[0:1], v[2:3] offset1:3
	ds_write_b64 v161, v[4:5] offset:48
	s_waitcnt lgkmcnt(0)
	; wave barrier
	s_waitcnt lgkmcnt(0)
	ds_read_b64 v[52:53], v165 offset:13104
	ds_read2_b64 v[16:19], v165 offset1:63
	ds_read2_b64 v[0:3], v167 offset0:120 offset1:183
	ds_read2_b64 v[48:51], v166 offset0:110 offset1:173
	;; [unrolled: 1-line block ×12, first 2 shown]
	s_waitcnt lgkmcnt(0)
	; wave barrier
	s_waitcnt lgkmcnt(0)
	ds_write2_b64 v91, v[157:158], v[138:139] offset1:3
	ds_write_b64 v91, v[115:116] offset:48
	ds_write2_b64 v159, v[54:55], v[72:73] offset1:3
	ds_write_b64 v159, v[120:121] offset:48
	v_add_f64 v[54:55], v[64:65], -v[70:71]
	ds_write2_b64 v160, v[58:59], v[111:112] offset1:3
	ds_write_b64 v160, v[122:123] offset:48
	ds_write2_b64 v174, v[56:57], v[124:125] offset1:3
	v_add_f64 v[56:57], v[74:75], -v[68:69]
	v_add_f64 v[64:65], v[97:98], -v[105:106]
	;; [unrolled: 1-line block ×3, first 2 shown]
	v_fma_f64 v[58:59], v[66:67], s[4:5], v[128:129]
	v_add_f64 v[72:73], v[109:110], -v[113:114]
	v_add_f64 v[62:63], v[126:127], v[62:63]
	v_fma_f64 v[66:67], v[54:55], s[6:7], v[149:150]
	v_fma_f64 v[54:55], v[54:55], s[4:5], v[149:150]
	v_add_f64 v[60:61], v[93:94], v[60:61]
	v_fma_f64 v[70:71], v[56:57], s[6:7], v[151:152]
	v_fma_f64 v[56:57], v[56:57], s[4:5], v[151:152]
	;; [unrolled: 3-line block ×5, first 2 shown]
	ds_write_b64 v174, v[58:59] offset:48
	ds_write2_b64 v175, v[62:63], v[66:67] offset1:3
	ds_write_b64 v175, v[54:55] offset:48
	ds_write2_b64 v176, v[60:61], v[70:71] offset1:3
	;; [unrolled: 2-line block ×5, first 2 shown]
	ds_write_b64 v161, v[72:73] offset:48
	v_mov_b32_e32 v74, 57
	v_mul_lo_u16_sdwa v54, v162, v74 dst_sel:DWORD dst_unused:UNUSED_PAD src0_sel:BYTE_0 src1_sel:DWORD
	v_lshrrev_b16_e32 v90, 9, v54
	v_mul_lo_u16_e32 v54, 9, v90
	v_sub_u16_e32 v93, v162, v54
	v_mul_lo_u16_sdwa v58, v82, v74 dst_sel:DWORD dst_unused:UNUSED_PAD src0_sel:BYTE_0 src1_sel:DWORD
	v_lshlrev_b32_sdwa v75, v78, v93 dst_sel:DWORD dst_unused:UNUSED_PAD src0_sel:DWORD src1_sel:BYTE_0
	v_lshrrev_b16_e32 v76, 9, v58
	s_waitcnt lgkmcnt(0)
	; wave barrier
	s_waitcnt lgkmcnt(0)
	global_load_dwordx4 v[54:57], v75, s[8:9] offset:112
	v_mul_lo_u16_e32 v58, 9, v76
	v_sub_u16_e32 v77, v82, v58
	v_lshlrev_b32_sdwa v66, v78, v77 dst_sel:DWORD dst_unused:UNUSED_PAD src0_sel:DWORD src1_sel:BYTE_0
	global_load_dwordx4 v[58:61], v66, s[8:9] offset:112
	global_load_dwordx4 v[62:65], v66, s[8:9] offset:96
	v_mul_lo_u16_sdwa v66, v164, v74 dst_sel:DWORD dst_unused:UNUSED_PAD src0_sel:BYTE_0 src1_sel:DWORD
	v_lshrrev_b16_e32 v87, 9, v66
	v_mul_lo_u16_e32 v66, 9, v87
	v_sub_u16_e32 v88, v164, v66
	v_lshlrev_b32_sdwa v89, v78, v88 dst_sel:DWORD dst_unused:UNUSED_PAD src0_sel:DWORD src1_sel:BYTE_0
	global_load_dwordx4 v[66:69], v89, s[8:9] offset:96
	global_load_dwordx4 v[70:73], v89, s[8:9] offset:112
	v_mul_lo_u16_sdwa v74, v163, v74 dst_sel:DWORD dst_unused:UNUSED_PAD src0_sel:BYTE_0 src1_sel:DWORD
	v_lshrrev_b16_e32 v89, 9, v74
	v_mul_lo_u16_e32 v74, 9, v89
	v_sub_u16_e32 v91, v163, v74
	v_lshlrev_b32_sdwa v74, v78, v91 dst_sel:DWORD dst_unused:UNUSED_PAD src0_sel:DWORD src1_sel:BYTE_0
	global_load_dwordx4 v[100:103], v74, s[8:9] offset:112
	global_load_dwordx4 v[104:107], v74, s[8:9] offset:96
	v_mul_u32_u24_sdwa v74, v84, s0 dst_sel:DWORD dst_unused:UNUSED_PAD src0_sel:WORD_0 src1_sel:DWORD
	v_lshrrev_b32_e32 v95, 19, v74
	v_mul_lo_u16_e32 v74, 9, v95
	v_sub_u16_e32 v97, v84, v74
	v_lshlrev_b32_e32 v74, 5, v97
	global_load_dwordx4 v[108:111], v74, s[8:9] offset:96
	global_load_dwordx4 v[112:115], v74, s[8:9] offset:112
	v_mul_u32_u24_sdwa v74, v85, s0 dst_sel:DWORD dst_unused:UNUSED_PAD src0_sel:WORD_0 src1_sel:DWORD
	v_lshrrev_b32_e32 v94, 19, v74
	v_mul_lo_u16_e32 v74, 9, v94
	v_sub_u16_e32 v96, v85, v74
	v_lshlrev_b32_e32 v74, 5, v96
	;; [unrolled: 7-line block ×4, first 2 shown]
	global_load_dwordx4 v[132:135], v75, s[8:9] offset:96
	global_load_dwordx4 v[136:139], v74, s[8:9] offset:112
	global_load_dwordx4 v[140:143], v74, s[8:9] offset:96
	v_mul_u32_u24_sdwa v74, v86, s0 dst_sel:DWORD dst_unused:UNUSED_PAD src0_sel:WORD_0 src1_sel:DWORD
	v_lshrrev_b32_e32 v185, 19, v74
	v_mul_lo_u16_e32 v74, 9, v185
	v_sub_u16_e32 v186, v86, v74
	v_lshlrev_b32_e32 v74, 5, v186
	global_load_dwordx4 v[149:152], v74, s[8:9] offset:96
	global_load_dwordx4 v[157:160], v74, s[8:9] offset:112
	ds_read2_b64 v[153:156], v166 offset0:110 offset1:173
	ds_read2_b64 v[174:177], v169 offset0:118 offset1:181
	s_movk_i32 s0, 0x2f69
	s_waitcnt vmcnt(17) lgkmcnt(1)
	v_mul_f64 v[74:75], v[153:154], v[56:57]
	v_mul_f64 v[56:57], v[48:49], v[56:57]
	s_waitcnt vmcnt(16)
	v_mul_f64 v[178:179], v[155:156], v[60:61]
	v_mul_f64 v[60:61], v[50:51], v[60:61]
	s_waitcnt vmcnt(15) lgkmcnt(0)
	v_mul_f64 v[180:181], v[174:175], v[64:65]
	v_mul_f64 v[64:65], v[44:45], v[64:65]
	v_fma_f64 v[182:183], v[48:49], v[54:55], v[74:75]
	v_fma_f64 v[153:154], v[153:154], v[54:55], -v[56:57]
	s_waitcnt vmcnt(14)
	v_mul_f64 v[56:57], v[176:177], v[68:69]
	v_fma_f64 v[178:179], v[50:51], v[58:59], v[178:179]
	v_fma_f64 v[54:55], v[155:156], v[58:59], -v[60:61]
	ds_read2_b64 v[48:51], v168 offset0:108 offset1:171
	v_fma_f64 v[155:156], v[44:45], v[62:63], v[180:181]
	v_fma_f64 v[174:175], v[174:175], v[62:63], -v[64:65]
	v_mul_f64 v[44:45], v[46:47], v[68:69]
	ds_read2_b64 v[60:63], v148 offset0:116 offset1:179
	s_waitcnt vmcnt(13) lgkmcnt(1)
	v_mul_f64 v[58:59], v[48:49], v[72:73]
	v_mul_f64 v[64:65], v[40:41], v[72:73]
	s_waitcnt vmcnt(12)
	v_mul_f64 v[68:69], v[50:51], v[102:103]
	v_mul_f64 v[72:73], v[42:43], v[102:103]
	v_fma_f64 v[102:103], v[46:47], v[66:67], v[56:57]
	s_waitcnt vmcnt(11) lgkmcnt(0)
	v_mul_f64 v[46:47], v[60:61], v[106:107]
	v_fma_f64 v[176:177], v[176:177], v[66:67], -v[44:45]
	v_mul_f64 v[44:45], v[36:37], v[106:107]
	v_fma_f64 v[180:181], v[40:41], v[70:71], v[58:59]
	v_fma_f64 v[58:59], v[48:49], v[70:71], -v[64:65]
	v_fma_f64 v[66:67], v[42:43], v[100:101], v[68:69]
	v_fma_f64 v[56:57], v[50:51], v[100:101], -v[72:73]
	ds_read2_b64 v[40:43], v171 offset0:106 offset1:169
	v_fma_f64 v[72:73], v[36:37], v[104:105], v[46:47]
	s_waitcnt vmcnt(10)
	v_mul_f64 v[36:37], v[62:63], v[110:111]
	v_fma_f64 v[50:51], v[60:61], v[104:105], -v[44:45]
	ds_read2_b64 v[44:47], v170 offset0:114 offset1:177
	v_mul_f64 v[48:49], v[38:39], v[110:111]
	s_waitcnt vmcnt(9)
	v_mul_f64 v[68:69], v[32:33], v[114:115]
	s_waitcnt lgkmcnt(1)
	v_mul_f64 v[60:61], v[40:41], v[114:115]
	s_waitcnt vmcnt(8)
	v_mul_f64 v[74:75], v[42:43], v[118:119]
	v_mul_f64 v[100:101], v[34:35], v[118:119]
	v_fma_f64 v[64:65], v[38:39], v[108:109], v[36:37]
	s_waitcnt vmcnt(7) lgkmcnt(0)
	v_mul_f64 v[36:37], v[44:45], v[122:123]
	v_mul_f64 v[38:39], v[28:29], v[122:123]
	v_fma_f64 v[48:49], v[62:63], v[108:109], -v[48:49]
	v_fma_f64 v[62:63], v[40:41], v[112:113], -v[68:69]
	s_waitcnt vmcnt(6)
	v_mul_f64 v[40:41], v[46:47], v[126:127]
	v_fma_f64 v[70:71], v[32:33], v[112:113], v[60:61]
	v_fma_f64 v[68:69], v[34:35], v[116:117], v[74:75]
	v_fma_f64 v[60:61], v[42:43], v[116:117], -v[100:101]
	ds_read2_b64 v[32:35], v81 offset0:104 offset1:167
	v_fma_f64 v[74:75], v[28:29], v[120:121], v[36:37]
	v_fma_f64 v[42:43], v[44:45], v[120:121], -v[38:39]
	ds_read2_b64 v[36:39], v167 offset0:120 offset1:183
	v_fma_f64 v[106:107], v[30:31], v[124:125], v[40:41]
	s_waitcnt vmcnt(5) lgkmcnt(1)
	v_mul_f64 v[100:101], v[32:33], v[130:131]
	v_mul_f64 v[44:45], v[30:31], v[126:127]
	ds_read2_b64 v[28:31], v173 offset0:112 offset1:175
	s_waitcnt vmcnt(4) lgkmcnt(1)
	v_mul_f64 v[40:41], v[38:39], v[134:135]
	v_mul_f64 v[104:105], v[24:25], v[130:131]
	s_waitcnt vmcnt(3)
	v_mul_f64 v[108:109], v[34:35], v[138:139]
	v_mul_f64 v[110:111], v[26:27], v[138:139]
	v_add_f64 v[126:127], v[174:175], -v[54:55]
	v_fma_f64 v[100:101], v[24:25], v[128:129], v[100:101]
	s_waitcnt vmcnt(2) lgkmcnt(0)
	v_mul_f64 v[24:25], v[28:29], v[142:143]
	v_fma_f64 v[44:45], v[46:47], v[124:125], -v[44:45]
	v_fma_f64 v[40:41], v[2:3], v[132:133], v[40:41]
	v_mul_f64 v[2:3], v[2:3], v[134:135]
	v_fma_f64 v[104:105], v[32:33], v[128:129], -v[104:105]
	v_fma_f64 v[108:109], v[26:27], v[136:137], v[108:109]
	v_mul_f64 v[26:27], v[20:21], v[142:143]
	s_waitcnt vmcnt(1)
	v_mul_f64 v[32:33], v[30:31], v[151:152]
	v_fma_f64 v[112:113], v[20:21], v[140:141], v[24:25]
	v_fma_f64 v[110:111], v[34:35], v[136:137], -v[110:111]
	v_add_f64 v[20:21], v[40:41], v[182:183]
	v_fma_f64 v[2:3], v[38:39], v[132:133], -v[2:3]
	ds_read_b64 v[34:35], v165 offset:13104
	v_mul_f64 v[24:25], v[22:23], v[151:152]
	s_waitcnt vmcnt(0)
	v_mul_f64 v[46:47], v[52:53], v[159:160]
	v_fma_f64 v[116:117], v[22:23], v[149:150], v[32:33]
	v_add_f64 v[22:23], v[16:17], v[40:41]
	s_waitcnt lgkmcnt(0)
	v_mul_f64 v[38:39], v[34:35], v[159:160]
	v_fma_f64 v[16:17], v[20:21], -0.5, v[16:17]
	v_add_f64 v[118:119], v[2:3], -v[153:154]
	v_mul_u32_u24_e32 v20, 0xd8, v90
	v_lshlrev_b32_sdwa v21, v92, v93 dst_sel:DWORD dst_unused:UNUSED_PAD src0_sel:DWORD src1_sel:BYTE_0
	v_fma_f64 v[124:125], v[34:35], v[157:158], -v[46:47]
	v_fma_f64 v[114:115], v[28:29], v[140:141], -v[26:27]
	;; [unrolled: 1-line block ×3, first 2 shown]
	v_fma_f64 v[122:123], v[52:53], v[157:158], v[38:39]
	v_add_f64 v[38:39], v[22:23], v[182:183]
	v_fma_f64 v[46:47], v[118:119], s[4:5], v[16:17]
	v_add_f64 v[52:53], v[155:156], v[178:179]
	v_add3_u32 v157, 0, v20, v21
	ds_read2_b64 v[20:23], v165 offset1:63
	ds_read2_b64 v[24:27], v165 offset0:126 offset1:189
	ds_read2_b64 v[28:31], v80 offset0:124 offset1:187
	;; [unrolled: 1-line block ×3, first 2 shown]
	s_waitcnt lgkmcnt(0)
	; wave barrier
	s_waitcnt lgkmcnt(0)
	v_fma_f64 v[16:17], v[118:119], s[6:7], v[16:17]
	ds_write2_b64 v157, v[38:39], v[46:47] offset1:9
	v_add_f64 v[38:39], v[2:3], v[153:154]
	v_add_f64 v[46:47], v[174:175], v[54:55]
	v_fma_f64 v[52:53], v[52:53], -0.5, v[18:19]
	v_add_f64 v[118:119], v[102:103], v[180:181]
	v_add_f64 v[18:19], v[18:19], v[155:156]
	;; [unrolled: 1-line block ×4, first 2 shown]
	ds_write_b64 v157, v[16:17] offset:144
	v_fma_f64 v[128:129], v[38:39], -0.5, v[20:21]
	v_fma_f64 v[130:131], v[46:47], -0.5, v[22:23]
	v_add_f64 v[20:21], v[12:13], v[102:103]
	v_fma_f64 v[12:13], v[118:119], -0.5, v[12:13]
	v_add_f64 v[22:23], v[176:177], -v[58:59]
	v_add_f64 v[18:19], v[18:19], v[178:179]
	v_fma_f64 v[38:39], v[126:127], s[4:5], v[52:53]
	v_fma_f64 v[46:47], v[126:127], s[6:7], v[52:53]
	v_mul_u32_u24_e32 v52, 0xd8, v76
	v_lshlrev_b32_sdwa v53, v92, v77 dst_sel:DWORD dst_unused:UNUSED_PAD src0_sel:DWORD src1_sel:BYTE_0
	v_add3_u32 v158, 0, v52, v53
	v_add_f64 v[16:17], v[20:21], v[180:181]
	v_fma_f64 v[20:21], v[22:23], s[4:5], v[12:13]
	ds_write2_b64 v158, v[18:19], v[38:39] offset1:9
	ds_write_b64 v158, v[46:47] offset:144
	v_add_f64 v[18:19], v[72:73], v[66:67]
	v_mul_u32_u24_e32 v38, 0xd8, v87
	v_lshlrev_b32_sdwa v39, v92, v88 dst_sel:DWORD dst_unused:UNUSED_PAD src0_sel:DWORD src1_sel:BYTE_0
	v_add3_u32 v159, 0, v38, v39
	v_fma_f64 v[12:13], v[22:23], s[6:7], v[12:13]
	ds_write2_b64 v159, v[16:17], v[20:21] offset1:9
	v_add_f64 v[16:17], v[176:177], v[58:59]
	v_add_f64 v[20:21], v[50:51], v[56:57]
	v_fma_f64 v[18:19], v[18:19], -0.5, v[14:15]
	v_add_f64 v[22:23], v[64:65], v[70:71]
	v_add_f64 v[14:15], v[14:15], v[72:73]
	v_add_f64 v[38:39], v[50:51], -v[56:57]
	v_add_f64 v[76:77], v[24:25], v[176:177]
	ds_write_b64 v159, v[12:13] offset:144
	v_fma_f64 v[87:88], v[16:17], -0.5, v[24:25]
	v_fma_f64 v[118:119], v[20:21], -0.5, v[26:27]
	v_add_f64 v[16:17], v[8:9], v[64:65]
	v_fma_f64 v[8:9], v[22:23], -0.5, v[8:9]
	v_add_f64 v[20:21], v[48:49], -v[62:63]
	v_add_f64 v[14:15], v[14:15], v[66:67]
	v_fma_f64 v[22:23], v[38:39], s[4:5], v[18:19]
	v_fma_f64 v[18:19], v[38:39], s[6:7], v[18:19]
	v_mul_u32_u24_e32 v24, 0xd8, v89
	v_lshlrev_b32_sdwa v25, v92, v91 dst_sel:DWORD dst_unused:UNUSED_PAD src0_sel:DWORD src1_sel:BYTE_0
	v_add3_u32 v91, 0, v24, v25
	v_add_f64 v[12:13], v[16:17], v[70:71]
	v_fma_f64 v[16:17], v[20:21], s[4:5], v[8:9]
	ds_write2_b64 v91, v[14:15], v[22:23] offset1:9
	ds_write_b64 v91, v[18:19] offset:144
	v_add_f64 v[14:15], v[74:75], v[68:69]
	v_mul_u32_u24_e32 v18, 0xd8, v95
	v_lshlrev_b32_e32 v19, 3, v97
	v_add3_u32 v160, 0, v18, v19
	v_fma_f64 v[8:9], v[20:21], s[6:7], v[8:9]
	ds_write2_b64 v160, v[12:13], v[16:17] offset1:9
	v_add_f64 v[12:13], v[48:49], v[62:63]
	v_add_f64 v[16:17], v[42:43], v[60:61]
	v_fma_f64 v[14:15], v[14:15], -0.5, v[10:11]
	v_add_f64 v[18:19], v[106:107], v[100:101]
	v_add_f64 v[10:11], v[10:11], v[74:75]
	v_add_f64 v[20:21], v[42:43], -v[60:61]
	ds_write_b64 v160, v[8:9] offset:144
	v_add_f64 v[149:150], v[40:41], -v[182:183]
	v_fma_f64 v[134:135], v[12:13], -0.5, v[28:29]
	v_fma_f64 v[136:137], v[16:17], -0.5, v[30:31]
	v_add_f64 v[12:13], v[4:5], v[106:107]
	v_fma_f64 v[4:5], v[18:19], -0.5, v[4:5]
	v_add_f64 v[16:17], v[44:45], -v[104:105]
	v_add_f64 v[10:11], v[10:11], v[68:69]
	v_fma_f64 v[18:19], v[20:21], s[4:5], v[14:15]
	v_fma_f64 v[14:15], v[20:21], s[6:7], v[14:15]
	v_mul_u32_u24_e32 v20, 0xd8, v94
	v_lshlrev_b32_e32 v21, 3, v96
	v_add3_u32 v174, 0, v20, v21
	v_add_f64 v[8:9], v[12:13], v[100:101]
	v_fma_f64 v[12:13], v[16:17], s[4:5], v[4:5]
	ds_write2_b64 v174, v[10:11], v[18:19] offset1:9
	ds_write_b64 v174, v[14:15] offset:144
	v_add_f64 v[10:11], v[112:113], v[108:109]
	v_mul_u32_u24_e32 v14, 0xd8, v161
	v_lshlrev_b32_e32 v15, 3, v184
	v_add3_u32 v161, 0, v14, v15
	v_fma_f64 v[4:5], v[16:17], s[6:7], v[4:5]
	ds_write2_b64 v161, v[8:9], v[12:13] offset1:9
	v_add_f64 v[8:9], v[44:45], v[104:105]
	v_add_f64 v[12:13], v[114:115], v[110:111]
	v_fma_f64 v[10:11], v[10:11], -0.5, v[6:7]
	v_add_f64 v[6:7], v[6:7], v[112:113]
	v_add_f64 v[14:15], v[114:115], -v[110:111]
	v_add_f64 v[16:17], v[116:117], v[122:123]
	ds_write_b64 v161, v[4:5] offset:144
	v_add_f64 v[151:152], v[155:156], -v[178:179]
	v_fma_f64 v[95:96], v[8:9], -0.5, v[32:33]
	v_fma_f64 v[140:141], v[12:13], -0.5, v[34:35]
	v_add_f64 v[12:13], v[120:121], -v[124:125]
	v_add_f64 v[4:5], v[6:7], v[108:109]
	v_fma_f64 v[6:7], v[14:15], s[4:5], v[10:11]
	v_fma_f64 v[8:9], v[16:17], -0.5, v[0:1]
	v_add_f64 v[0:1], v[0:1], v[116:117]
	v_add_f64 v[102:103], v[102:103], -v[180:181]
	v_add_f64 v[126:127], v[26:27], v[50:51]
	v_add_f64 v[66:67], v[72:73], -v[66:67]
	v_mul_u32_u24_e32 v18, 0xd8, v98
	v_lshlrev_b32_e32 v19, 3, v99
	v_add3_u32 v99, 0, v18, v19
	v_add_f64 v[16:17], v[120:121], v[124:125]
	v_fma_f64 v[10:11], v[14:15], s[6:7], v[10:11]
	ds_write2_b64 v99, v[4:5], v[6:7] offset1:9
	v_add_f64 v[0:1], v[0:1], v[122:123]
	v_fma_f64 v[4:5], v[12:13], s[4:5], v[8:9]
	v_fma_f64 v[6:7], v[12:13], s[6:7], v[8:9]
	v_add_f64 v[142:143], v[2:3], v[153:154]
	v_fma_f64 v[153:154], v[149:150], s[6:7], v[128:129]
	v_fma_f64 v[128:129], v[149:150], s[4:5], v[128:129]
	v_add_f64 v[54:55], v[132:133], v[54:55]
	v_fma_f64 v[72:73], v[151:152], s[6:7], v[130:131]
	v_add_f64 v[58:59], v[76:77], v[58:59]
	v_fma_f64 v[76:77], v[102:103], s[6:7], v[87:88]
	v_fma_f64 v[130:131], v[151:152], s[4:5], v[130:131]
	v_fma_f64 v[87:88], v[102:103], s[4:5], v[87:88]
	v_add_f64 v[56:57], v[126:127], v[56:57]
	v_fma_f64 v[102:103], v[66:67], s[6:7], v[118:119]
	v_mul_u32_u24_e32 v8, 0xd8, v185
	v_lshlrev_b32_e32 v9, 3, v186
	v_add3_u32 v175, 0, v8, v9
	v_add_f64 v[89:90], v[28:29], v[48:49]
	v_add_f64 v[138:139], v[30:31], v[42:43]
	;; [unrolled: 1-line block ×4, first 2 shown]
	v_fma_f64 v[97:98], v[16:17], -0.5, v[36:37]
	v_add_f64 v[120:121], v[36:37], v[120:121]
	ds_write_b64 v99, v[10:11] offset:144
	ds_write2_b64 v175, v[0:1], v[4:5] offset1:9
	ds_write_b64 v175, v[6:7] offset:144
	s_waitcnt lgkmcnt(0)
	; wave barrier
	s_waitcnt lgkmcnt(0)
	ds_read_b64 v[52:53], v165 offset:13104
	ds_read2_b64 v[16:19], v165 offset1:63
	ds_read2_b64 v[0:3], v167 offset0:120 offset1:183
	ds_read2_b64 v[48:51], v166 offset0:110 offset1:173
	;; [unrolled: 1-line block ×12, first 2 shown]
	s_waitcnt lgkmcnt(0)
	; wave barrier
	s_waitcnt lgkmcnt(0)
	ds_write2_b64 v157, v[142:143], v[153:154] offset1:9
	ds_write_b64 v157, v[128:129] offset:144
	ds_write2_b64 v158, v[54:55], v[72:73] offset1:9
	ds_write_b64 v158, v[130:131] offset:144
	v_add_f64 v[54:55], v[64:65], -v[70:71]
	ds_write2_b64 v159, v[58:59], v[76:77] offset1:9
	ds_write_b64 v159, v[87:88] offset:144
	ds_write2_b64 v91, v[56:57], v[102:103] offset1:9
	v_add_f64 v[56:57], v[74:75], -v[68:69]
	v_add_f64 v[64:65], v[106:107], -v[100:101]
	;; [unrolled: 1-line block ×3, first 2 shown]
	v_fma_f64 v[58:59], v[66:67], s[4:5], v[118:119]
	v_add_f64 v[72:73], v[116:117], -v[122:123]
	v_add_f64 v[62:63], v[89:90], v[62:63]
	v_fma_f64 v[66:67], v[54:55], s[6:7], v[134:135]
	v_fma_f64 v[54:55], v[54:55], s[4:5], v[134:135]
	v_add_f64 v[60:61], v[138:139], v[60:61]
	v_fma_f64 v[70:71], v[56:57], s[6:7], v[136:137]
	v_fma_f64 v[56:57], v[56:57], s[4:5], v[136:137]
	;; [unrolled: 3-line block ×5, first 2 shown]
	ds_write_b64 v91, v[58:59] offset:144
	ds_write2_b64 v160, v[62:63], v[66:67] offset1:9
	ds_write_b64 v160, v[54:55] offset:144
	ds_write2_b64 v174, v[60:61], v[70:71] offset1:9
	;; [unrolled: 2-line block ×5, first 2 shown]
	ds_write_b64 v175, v[72:73] offset:144
	v_mov_b32_e32 v54, 19
	v_mul_lo_u16_sdwa v55, v162, v54 dst_sel:DWORD dst_unused:UNUSED_PAD src0_sel:BYTE_0 src1_sel:DWORD
	v_lshrrev_b16_e32 v90, 9, v55
	v_mul_lo_u16_e32 v55, 27, v90
	v_sub_u16_e32 v93, v162, v55
	v_mul_lo_u16_sdwa v56, v82, v54 dst_sel:DWORD dst_unused:UNUSED_PAD src0_sel:BYTE_0 src1_sel:DWORD
	v_lshlrev_b32_sdwa v55, v78, v93 dst_sel:DWORD dst_unused:UNUSED_PAD src0_sel:DWORD src1_sel:BYTE_0
	v_lshrrev_b16_e32 v56, 9, v56
	s_waitcnt lgkmcnt(0)
	; wave barrier
	s_waitcnt lgkmcnt(0)
	global_load_dwordx4 v[58:61], v55, s[8:9] offset:400
	v_mul_lo_u16_e32 v57, 27, v56
	v_sub_u16_e32 v57, v82, v57
	v_lshlrev_b32_sdwa v70, v78, v57 dst_sel:DWORD dst_unused:UNUSED_PAD src0_sel:DWORD src1_sel:BYTE_0
	global_load_dwordx4 v[62:65], v70, s[8:9] offset:400
	global_load_dwordx4 v[66:69], v70, s[8:9] offset:384
	v_mul_lo_u16_sdwa v70, v164, v54 dst_sel:DWORD dst_unused:UNUSED_PAD src0_sel:BYTE_0 src1_sel:DWORD
	v_lshrrev_b16_e32 v87, 9, v70
	v_mul_lo_u16_e32 v70, 27, v87
	v_sub_u16_e32 v88, v164, v70
	v_lshlrev_b32_sdwa v89, v78, v88 dst_sel:DWORD dst_unused:UNUSED_PAD src0_sel:DWORD src1_sel:BYTE_0
	global_load_dwordx4 v[70:73], v89, s[8:9] offset:384
	global_load_dwordx4 v[74:77], v89, s[8:9] offset:400
	v_mul_lo_u16_sdwa v54, v163, v54 dst_sel:DWORD dst_unused:UNUSED_PAD src0_sel:BYTE_0 src1_sel:DWORD
	v_lshrrev_b16_e32 v89, 9, v54
	v_mul_lo_u16_e32 v54, 27, v89
	v_sub_u16_e32 v91, v163, v54
	v_lshlrev_b32_sdwa v54, v78, v91 dst_sel:DWORD dst_unused:UNUSED_PAD src0_sel:DWORD src1_sel:BYTE_0
	global_load_dwordx4 v[102:105], v54, s[8:9] offset:400
	global_load_dwordx4 v[106:109], v54, s[8:9] offset:384
	v_mul_u32_u24_sdwa v54, v84, s0 dst_sel:DWORD dst_unused:UNUSED_PAD src0_sel:WORD_0 src1_sel:DWORD
	v_sub_u16_sdwa v94, v84, v54 dst_sel:DWORD dst_unused:UNUSED_PAD src0_sel:DWORD src1_sel:WORD_1
	v_lshrrev_b16_e32 v94, 1, v94
	v_add_u16_sdwa v54, v94, v54 dst_sel:DWORD dst_unused:UNUSED_PAD src0_sel:DWORD src1_sel:WORD_1
	v_lshrrev_b16_e32 v94, 4, v54
	v_mul_lo_u16_e32 v54, 27, v94
	v_sub_u16_e32 v96, v84, v54
	v_lshlrev_b32_e32 v54, 5, v96
	global_load_dwordx4 v[110:113], v54, s[8:9] offset:384
	global_load_dwordx4 v[114:117], v54, s[8:9] offset:400
	v_mul_u32_u24_sdwa v54, v85, s0 dst_sel:DWORD dst_unused:UNUSED_PAD src0_sel:WORD_0 src1_sel:DWORD
	v_sub_u16_sdwa v95, v85, v54 dst_sel:DWORD dst_unused:UNUSED_PAD src0_sel:DWORD src1_sel:WORD_1
	v_lshrrev_b16_e32 v95, 1, v95
	v_add_u16_sdwa v54, v95, v54 dst_sel:DWORD dst_unused:UNUSED_PAD src0_sel:DWORD src1_sel:WORD_1
	v_lshrrev_b16_e32 v95, 4, v54
	v_mul_lo_u16_e32 v54, 27, v95
	v_sub_u16_e32 v97, v85, v54
	v_lshlrev_b32_e32 v54, 5, v97
	;; [unrolled: 10-line block ×4, first 2 shown]
	global_load_dwordx4 v[134:137], v55, s[8:9] offset:384
	global_load_dwordx4 v[138:141], v54, s[8:9] offset:400
	;; [unrolled: 1-line block ×3, first 2 shown]
	v_mul_u32_u24_sdwa v54, v86, s0 dst_sel:DWORD dst_unused:UNUSED_PAD src0_sel:WORD_0 src1_sel:DWORD
	v_sub_u16_sdwa v55, v86, v54 dst_sel:DWORD dst_unused:UNUSED_PAD src0_sel:DWORD src1_sel:WORD_1
	v_lshrrev_b16_e32 v55, 1, v55
	v_add_u16_sdwa v54, v55, v54 dst_sel:DWORD dst_unused:UNUSED_PAD src0_sel:DWORD src1_sel:WORD_1
	v_lshrrev_b16_e32 v161, 4, v54
	v_mul_lo_u16_e32 v54, 27, v161
	v_sub_u16_e32 v186, v86, v54
	v_lshlrev_b32_e32 v54, 5, v186
	global_load_dwordx4 v[153:156], v54, s[8:9] offset:384
	global_load_dwordx4 v[174:177], v54, s[8:9] offset:400
	ds_read2_b64 v[157:160], v166 offset0:110 offset1:173
	ds_read2_b64 v[178:181], v169 offset0:118 offset1:181
	v_mul_u32_u24_e32 v56, 0x288, v56
	v_lshlrev_b32_sdwa v57, v92, v57 dst_sel:DWORD dst_unused:UNUSED_PAD src0_sel:DWORD src1_sel:BYTE_0
	s_waitcnt vmcnt(17) lgkmcnt(1)
	v_mul_f64 v[54:55], v[157:158], v[60:61]
	v_mul_f64 v[60:61], v[48:49], v[60:61]
	s_waitcnt vmcnt(16)
	v_mul_f64 v[142:143], v[159:160], v[64:65]
	v_mul_f64 v[64:65], v[50:51], v[64:65]
	s_waitcnt vmcnt(15) lgkmcnt(0)
	v_mul_f64 v[182:183], v[178:179], v[68:69]
	v_mul_f64 v[68:69], v[44:45], v[68:69]
	v_fma_f64 v[184:185], v[48:49], v[58:59], v[54:55]
	v_fma_f64 v[157:158], v[157:158], v[58:59], -v[60:61]
	s_waitcnt vmcnt(14)
	v_mul_f64 v[58:59], v[180:181], v[72:73]
	v_fma_f64 v[142:143], v[50:51], v[62:63], v[142:143]
	v_fma_f64 v[54:55], v[159:160], v[62:63], -v[64:65]
	ds_read2_b64 v[48:51], v168 offset0:108 offset1:171
	v_fma_f64 v[159:160], v[44:45], v[66:67], v[182:183]
	v_mul_f64 v[44:45], v[46:47], v[72:73]
	ds_read2_b64 v[62:65], v148 offset0:116 offset1:179
	v_fma_f64 v[178:179], v[178:179], v[66:67], -v[68:69]
	s_waitcnt vmcnt(13) lgkmcnt(1)
	v_mul_f64 v[60:61], v[48:49], v[76:77]
	v_mul_f64 v[66:67], v[40:41], v[76:77]
	s_waitcnt vmcnt(12)
	v_mul_f64 v[68:69], v[50:51], v[104:105]
	v_mul_f64 v[72:73], v[42:43], v[104:105]
	v_fma_f64 v[104:105], v[46:47], v[70:71], v[58:59]
	s_waitcnt vmcnt(11) lgkmcnt(0)
	v_mul_f64 v[46:47], v[62:63], v[108:109]
	v_fma_f64 v[180:181], v[180:181], v[70:71], -v[44:45]
	v_mul_f64 v[44:45], v[36:37], v[108:109]
	v_fma_f64 v[182:183], v[40:41], v[74:75], v[60:61]
	v_fma_f64 v[60:61], v[48:49], v[74:75], -v[66:67]
	v_fma_f64 v[68:69], v[42:43], v[102:103], v[68:69]
	v_fma_f64 v[58:59], v[50:51], v[102:103], -v[72:73]
	ds_read2_b64 v[40:43], v171 offset0:106 offset1:169
	v_fma_f64 v[74:75], v[36:37], v[106:107], v[46:47]
	s_waitcnt vmcnt(10)
	v_mul_f64 v[36:37], v[64:65], v[112:113]
	v_fma_f64 v[50:51], v[62:63], v[106:107], -v[44:45]
	ds_read2_b64 v[44:47], v170 offset0:114 offset1:177
	v_mul_f64 v[48:49], v[38:39], v[112:113]
	s_waitcnt vmcnt(9)
	v_mul_f64 v[70:71], v[32:33], v[116:117]
	s_waitcnt lgkmcnt(1)
	v_mul_f64 v[62:63], v[40:41], v[116:117]
	s_waitcnt vmcnt(8)
	v_mul_f64 v[76:77], v[42:43], v[120:121]
	v_mul_f64 v[102:103], v[34:35], v[120:121]
	v_fma_f64 v[66:67], v[38:39], v[110:111], v[36:37]
	s_waitcnt vmcnt(7) lgkmcnt(0)
	v_mul_f64 v[36:37], v[44:45], v[124:125]
	v_mul_f64 v[38:39], v[28:29], v[124:125]
	v_fma_f64 v[48:49], v[64:65], v[110:111], -v[48:49]
	v_fma_f64 v[64:65], v[40:41], v[114:115], -v[70:71]
	s_waitcnt vmcnt(6)
	v_mul_f64 v[40:41], v[46:47], v[128:129]
	v_fma_f64 v[72:73], v[32:33], v[114:115], v[62:63]
	v_fma_f64 v[70:71], v[34:35], v[118:119], v[76:77]
	v_fma_f64 v[62:63], v[42:43], v[118:119], -v[102:103]
	ds_read2_b64 v[32:35], v81 offset0:104 offset1:167
	v_fma_f64 v[76:77], v[28:29], v[122:123], v[36:37]
	v_fma_f64 v[42:43], v[44:45], v[122:123], -v[38:39]
	ds_read2_b64 v[36:39], v167 offset0:120 offset1:183
	v_fma_f64 v[108:109], v[30:31], v[126:127], v[40:41]
	s_waitcnt vmcnt(5) lgkmcnt(1)
	v_mul_f64 v[102:103], v[32:33], v[132:133]
	v_mul_f64 v[44:45], v[30:31], v[128:129]
	ds_read2_b64 v[28:31], v173 offset0:112 offset1:175
	s_waitcnt vmcnt(4) lgkmcnt(1)
	v_mul_f64 v[40:41], v[38:39], v[136:137]
	v_mul_f64 v[106:107], v[24:25], v[132:133]
	s_waitcnt vmcnt(3)
	v_mul_f64 v[110:111], v[34:35], v[140:141]
	v_mul_f64 v[112:113], v[26:27], v[140:141]
	v_add_f64 v[128:129], v[178:179], -v[54:55]
	v_fma_f64 v[102:103], v[24:25], v[130:131], v[102:103]
	s_waitcnt vmcnt(2) lgkmcnt(0)
	v_mul_f64 v[24:25], v[28:29], v[151:152]
	v_fma_f64 v[44:45], v[46:47], v[126:127], -v[44:45]
	v_fma_f64 v[40:41], v[2:3], v[134:135], v[40:41]
	v_mul_f64 v[2:3], v[2:3], v[136:137]
	v_fma_f64 v[106:107], v[32:33], v[130:131], -v[106:107]
	v_fma_f64 v[110:111], v[26:27], v[138:139], v[110:111]
	v_mul_f64 v[26:27], v[20:21], v[151:152]
	s_waitcnt vmcnt(1)
	v_mul_f64 v[32:33], v[30:31], v[155:156]
	v_fma_f64 v[114:115], v[20:21], v[149:150], v[24:25]
	v_fma_f64 v[112:113], v[34:35], v[138:139], -v[112:113]
	v_add_f64 v[20:21], v[40:41], v[184:185]
	v_fma_f64 v[2:3], v[38:39], v[134:135], -v[2:3]
	ds_read_b64 v[34:35], v165 offset:13104
	v_mul_f64 v[24:25], v[22:23], v[155:156]
	s_waitcnt vmcnt(0)
	v_mul_f64 v[46:47], v[52:53], v[176:177]
	v_fma_f64 v[118:119], v[22:23], v[153:154], v[32:33]
	v_add_f64 v[22:23], v[16:17], v[40:41]
	s_waitcnt lgkmcnt(0)
	v_mul_f64 v[38:39], v[34:35], v[176:177]
	v_fma_f64 v[16:17], v[20:21], -0.5, v[16:17]
	v_add_f64 v[120:121], v[2:3], -v[157:158]
	v_add_f64 v[126:127], v[159:160], v[142:143]
	v_mul_u32_u24_e32 v20, 0x288, v90
	v_fma_f64 v[124:125], v[34:35], v[174:175], -v[46:47]
	v_lshlrev_b32_sdwa v21, v92, v93 dst_sel:DWORD dst_unused:UNUSED_PAD src0_sel:DWORD src1_sel:BYTE_0
	v_add3_u32 v155, 0, v20, v21
	v_fma_f64 v[52:53], v[52:53], v[174:175], v[38:39]
	v_add_f64 v[38:39], v[22:23], v[184:185]
	v_fma_f64 v[46:47], v[120:121], s[4:5], v[16:17]
	v_fma_f64 v[116:117], v[28:29], v[149:150], -v[26:27]
	v_fma_f64 v[122:123], v[30:31], v[153:154], -v[24:25]
	ds_read2_b64 v[20:23], v165 offset1:63
	ds_read2_b64 v[24:27], v165 offset0:126 offset1:189
	ds_read2_b64 v[28:31], v80 offset0:124 offset1:187
	;; [unrolled: 1-line block ×3, first 2 shown]
	s_waitcnt lgkmcnt(0)
	; wave barrier
	s_waitcnt lgkmcnt(0)
	v_fma_f64 v[16:17], v[120:121], s[6:7], v[16:17]
	ds_write2_b64 v155, v[38:39], v[46:47] offset1:27
	v_add_f64 v[38:39], v[2:3], v[157:158]
	v_add_f64 v[46:47], v[178:179], v[54:55]
	v_fma_f64 v[120:121], v[126:127], -0.5, v[18:19]
	v_add_f64 v[126:127], v[104:105], v[182:183]
	v_add_f64 v[18:19], v[18:19], v[159:160]
	;; [unrolled: 1-line block ×4, first 2 shown]
	v_add3_u32 v156, 0, v56, v57
	v_fma_f64 v[130:131], v[38:39], -0.5, v[20:21]
	v_fma_f64 v[132:133], v[46:47], -0.5, v[22:23]
	v_add_f64 v[20:21], v[12:13], v[104:105]
	v_fma_f64 v[12:13], v[126:127], -0.5, v[12:13]
	v_add_f64 v[22:23], v[180:181], -v[60:61]
	v_add_f64 v[18:19], v[18:19], v[142:143]
	v_fma_f64 v[38:39], v[128:129], s[4:5], v[120:121]
	v_fma_f64 v[46:47], v[128:129], s[6:7], v[120:121]
	ds_write_b64 v155, v[16:17] offset:432
	ds_write2_b64 v156, v[18:19], v[38:39] offset1:27
	ds_write_b64 v156, v[46:47] offset:432
	v_add_f64 v[16:17], v[20:21], v[182:183]
	v_fma_f64 v[20:21], v[22:23], s[4:5], v[12:13]
	v_add_f64 v[18:19], v[74:75], v[68:69]
	v_mul_u32_u24_e32 v38, 0x288, v87
	v_lshlrev_b32_sdwa v39, v92, v88 dst_sel:DWORD dst_unused:UNUSED_PAD src0_sel:DWORD src1_sel:BYTE_0
	v_add3_u32 v174, 0, v38, v39
	v_fma_f64 v[12:13], v[22:23], s[6:7], v[12:13]
	v_add_f64 v[22:23], v[66:67], v[72:73]
	v_add_f64 v[38:39], v[50:51], -v[58:59]
	ds_write2_b64 v174, v[16:17], v[20:21] offset1:27
	v_add_f64 v[16:17], v[180:181], v[60:61]
	v_add_f64 v[20:21], v[50:51], v[58:59]
	v_fma_f64 v[18:19], v[18:19], -0.5, v[14:15]
	v_add_f64 v[14:15], v[14:15], v[74:75]
	v_add_f64 v[87:88], v[24:25], v[180:181]
	ds_write_b64 v174, v[12:13] offset:432
	v_add_f64 v[151:152], v[40:41], -v[184:185]
	v_add_f64 v[142:143], v[159:160], -v[142:143]
	v_fma_f64 v[120:121], v[16:17], -0.5, v[24:25]
	v_fma_f64 v[126:127], v[20:21], -0.5, v[26:27]
	v_add_f64 v[16:17], v[8:9], v[66:67]
	v_fma_f64 v[8:9], v[22:23], -0.5, v[8:9]
	v_add_f64 v[20:21], v[48:49], -v[64:65]
	v_add_f64 v[14:15], v[14:15], v[68:69]
	v_fma_f64 v[22:23], v[38:39], s[4:5], v[18:19]
	v_fma_f64 v[18:19], v[38:39], s[6:7], v[18:19]
	v_mul_u32_u24_e32 v24, 0x288, v89
	v_lshlrev_b32_sdwa v25, v92, v91 dst_sel:DWORD dst_unused:UNUSED_PAD src0_sel:DWORD src1_sel:BYTE_0
	v_add3_u32 v91, 0, v24, v25
	v_add_f64 v[12:13], v[16:17], v[72:73]
	v_fma_f64 v[16:17], v[20:21], s[4:5], v[8:9]
	ds_write2_b64 v91, v[14:15], v[22:23] offset1:27
	ds_write_b64 v91, v[18:19] offset:432
	v_add_f64 v[14:15], v[76:77], v[70:71]
	v_mul_u32_u24_e32 v18, 0x288, v94
	v_lshlrev_b32_e32 v19, 3, v96
	v_add3_u32 v175, 0, v18, v19
	v_fma_f64 v[8:9], v[20:21], s[6:7], v[8:9]
	ds_write2_b64 v175, v[12:13], v[16:17] offset1:27
	v_add_f64 v[12:13], v[48:49], v[64:65]
	v_add_f64 v[16:17], v[42:43], v[62:63]
	v_fma_f64 v[14:15], v[14:15], -0.5, v[10:11]
	v_add_f64 v[18:19], v[108:109], v[102:103]
	v_add_f64 v[10:11], v[10:11], v[76:77]
	v_add_f64 v[20:21], v[42:43], -v[62:63]
	ds_write_b64 v175, v[8:9] offset:432
	v_add_f64 v[104:105], v[104:105], -v[182:183]
	v_fma_f64 v[93:94], v[12:13], -0.5, v[28:29]
	v_fma_f64 v[136:137], v[16:17], -0.5, v[30:31]
	v_add_f64 v[12:13], v[4:5], v[108:109]
	v_fma_f64 v[4:5], v[18:19], -0.5, v[4:5]
	v_add_f64 v[16:17], v[44:45], -v[106:107]
	v_add_f64 v[10:11], v[10:11], v[70:71]
	v_fma_f64 v[18:19], v[20:21], s[4:5], v[14:15]
	v_fma_f64 v[14:15], v[20:21], s[6:7], v[14:15]
	v_mul_u32_u24_e32 v20, 0x288, v95
	v_lshlrev_b32_e32 v21, 3, v97
	v_add3_u32 v176, 0, v20, v21
	v_add_f64 v[8:9], v[12:13], v[102:103]
	v_fma_f64 v[12:13], v[16:17], s[4:5], v[4:5]
	ds_write2_b64 v176, v[10:11], v[18:19] offset1:27
	ds_write_b64 v176, v[14:15] offset:432
	v_add_f64 v[10:11], v[114:115], v[110:111]
	v_mul_u32_u24_e32 v14, 0x288, v100
	v_lshlrev_b32_e32 v15, 3, v101
	v_add3_u32 v177, 0, v14, v15
	v_fma_f64 v[4:5], v[16:17], s[6:7], v[4:5]
	ds_write2_b64 v177, v[8:9], v[12:13] offset1:27
	v_add_f64 v[8:9], v[44:45], v[106:107]
	v_add_f64 v[12:13], v[116:117], v[112:113]
	v_fma_f64 v[10:11], v[10:11], -0.5, v[6:7]
	v_add_f64 v[6:7], v[6:7], v[114:115]
	v_add_f64 v[14:15], v[116:117], -v[112:113]
	v_add_f64 v[16:17], v[118:119], v[52:53]
	ds_write_b64 v177, v[4:5] offset:432
	v_add_f64 v[128:129], v[26:27], v[50:51]
	v_fma_f64 v[100:101], v[8:9], -0.5, v[32:33]
	v_fma_f64 v[140:141], v[12:13], -0.5, v[34:35]
	v_add_f64 v[12:13], v[122:123], -v[124:125]
	v_add_f64 v[4:5], v[6:7], v[110:111]
	v_fma_f64 v[6:7], v[14:15], s[4:5], v[10:11]
	v_fma_f64 v[8:9], v[16:17], -0.5, v[0:1]
	v_add_f64 v[0:1], v[0:1], v[118:119]
	v_add_f64 v[68:69], v[74:75], -v[68:69]
	v_mul_u32_u24_e32 v18, 0x288, v98
	v_lshlrev_b32_e32 v19, 3, v99
	v_add3_u32 v99, 0, v18, v19
	v_add_f64 v[16:17], v[122:123], v[124:125]
	v_fma_f64 v[10:11], v[14:15], s[6:7], v[10:11]
	ds_write2_b64 v99, v[4:5], v[6:7] offset1:27
	v_add_f64 v[0:1], v[0:1], v[52:53]
	v_fma_f64 v[4:5], v[12:13], s[4:5], v[8:9]
	v_fma_f64 v[6:7], v[12:13], s[6:7], v[8:9]
	v_add_f64 v[149:150], v[2:3], v[157:158]
	v_fma_f64 v[153:154], v[151:152], s[6:7], v[130:131]
	v_fma_f64 v[130:131], v[151:152], s[4:5], v[130:131]
	v_add_f64 v[54:55], v[134:135], v[54:55]
	v_fma_f64 v[74:75], v[142:143], s[6:7], v[132:133]
	v_add_f64 v[60:61], v[87:88], v[60:61]
	v_fma_f64 v[87:88], v[104:105], s[6:7], v[120:121]
	v_fma_f64 v[132:133], v[142:143], s[4:5], v[132:133]
	;; [unrolled: 1-line block ×3, first 2 shown]
	v_add_f64 v[58:59], v[128:129], v[58:59]
	v_fma_f64 v[120:121], v[68:69], s[6:7], v[126:127]
	v_mul_u32_u24_e32 v8, 0x288, v161
	v_lshlrev_b32_e32 v9, 3, v186
	v_add3_u32 v161, 0, v8, v9
	v_add_f64 v[89:90], v[28:29], v[48:49]
	v_add_f64 v[138:139], v[30:31], v[42:43]
	;; [unrolled: 1-line block ×4, first 2 shown]
	v_fma_f64 v[97:98], v[16:17], -0.5, v[36:37]
	v_add_f64 v[122:123], v[36:37], v[122:123]
	ds_write_b64 v99, v[10:11] offset:432
	ds_write2_b64 v161, v[0:1], v[4:5] offset1:27
	ds_write_b64 v161, v[6:7] offset:432
	s_waitcnt lgkmcnt(0)
	; wave barrier
	s_waitcnt lgkmcnt(0)
	ds_read_b64 v[56:57], v165 offset:13104
	ds_read2_b64 v[20:23], v165 offset1:63
	ds_read2_b64 v[4:7], v167 offset0:120 offset1:183
	ds_read2_b64 v[48:51], v166 offset0:110 offset1:173
	;; [unrolled: 1-line block ×12, first 2 shown]
	s_waitcnt lgkmcnt(0)
	; wave barrier
	s_waitcnt lgkmcnt(0)
	ds_write2_b64 v155, v[149:150], v[153:154] offset1:27
	ds_write_b64 v155, v[130:131] offset:432
	ds_write2_b64 v156, v[54:55], v[74:75] offset1:27
	ds_write_b64 v156, v[132:133] offset:432
	v_add_f64 v[54:55], v[66:67], -v[72:73]
	ds_write2_b64 v174, v[60:61], v[87:88] offset1:27
	ds_write_b64 v174, v[104:105] offset:432
	ds_write2_b64 v91, v[58:59], v[120:121] offset1:27
	v_add_f64 v[58:59], v[76:77], -v[70:71]
	v_add_f64 v[66:67], v[108:109], -v[102:103]
	;; [unrolled: 1-line block ×3, first 2 shown]
	v_fma_f64 v[60:61], v[68:69], s[4:5], v[126:127]
	v_add_f64 v[52:53], v[118:119], -v[52:53]
	v_add_f64 v[64:65], v[89:90], v[64:65]
	v_fma_f64 v[68:69], v[54:55], s[6:7], v[93:94]
	v_fma_f64 v[54:55], v[54:55], s[4:5], v[93:94]
	v_add_f64 v[62:63], v[138:139], v[62:63]
	v_fma_f64 v[72:73], v[58:59], s[6:7], v[136:137]
	v_fma_f64 v[58:59], v[58:59], s[4:5], v[136:137]
	;; [unrolled: 3-line block ×5, first 2 shown]
	ds_write_b64 v91, v[60:61] offset:432
	ds_write2_b64 v175, v[64:65], v[68:69] offset1:27
	ds_write_b64 v175, v[54:55] offset:432
	ds_write2_b64 v176, v[62:63], v[72:73] offset1:27
	;; [unrolled: 2-line block ×5, first 2 shown]
	ds_write_b64 v161, v[52:53] offset:432
	v_lshlrev_b32_e32 v58, 1, v162
	v_mov_b32_e32 v59, 0
	v_lshlrev_b64 v[52:53], 4, v[58:59]
	v_mov_b32_e32 v60, s9
	v_add_co_u32_e64 v102, s[0:1], s8, v52
	v_addc_co_u32_e64 v103, s[0:1], v60, v53, s[0:1]
	v_subrev_u32_e32 v58, 18, v162
	v_cmp_gt_u32_e64 s[0:1], 18, v162
	v_cndmask_b32_e64 v93, v58, v82, s[0:1]
	v_lshlrev_b32_e32 v58, 1, v93
	s_waitcnt lgkmcnt(0)
	; wave barrier
	s_waitcnt lgkmcnt(0)
	global_load_dwordx4 v[52:55], v[102:103], off offset:1264
	v_lshlrev_b64 v[58:59], 4, v[58:59]
	v_add_co_u32_e64 v66, s[0:1], s8, v58
	v_addc_co_u32_e64 v67, s[0:1], v60, v59, s[0:1]
	global_load_dwordx4 v[58:61], v[66:67], off offset:1264
	global_load_dwordx4 v[62:65], v[66:67], off offset:1248
	s_movk_i32 s0, 0xcb
	v_mul_lo_u16_sdwa v66, v164, s0 dst_sel:DWORD dst_unused:UNUSED_PAD src0_sel:BYTE_0 src1_sel:DWORD
	v_lshrrev_b16_e32 v95, 14, v66
	v_mul_lo_u16_e32 v66, 0x51, v95
	v_sub_u16_e32 v94, v164, v66
	v_lshlrev_b32_sdwa v74, v78, v94 dst_sel:DWORD dst_unused:UNUSED_PAD src0_sel:DWORD src1_sel:BYTE_0
	global_load_dwordx4 v[66:69], v74, s[8:9] offset:1248
	global_load_dwordx4 v[70:73], v74, s[8:9] offset:1264
	v_mul_lo_u16_sdwa v74, v163, s0 dst_sel:DWORD dst_unused:UNUSED_PAD src0_sel:BYTE_0 src1_sel:DWORD
	v_lshrrev_b16_e32 v96, 14, v74
	v_mul_lo_u16_e32 v74, 0x51, v96
	v_sub_u16_e32 v97, v163, v74
	v_lshlrev_b32_sdwa v78, v78, v97 dst_sel:DWORD dst_unused:UNUSED_PAD src0_sel:DWORD src1_sel:BYTE_0
	s_movk_i32 s0, 0x6523
	global_load_dwordx4 v[74:77], v78, s[8:9] offset:1264
	global_load_dwordx4 v[87:90], v78, s[8:9] offset:1248
	v_mul_u32_u24_sdwa v78, v84, s0 dst_sel:DWORD dst_unused:UNUSED_PAD src0_sel:WORD_0 src1_sel:DWORD
	v_lshrrev_b32_e32 v78, 21, v78
	v_mul_lo_u16_e32 v78, 0x51, v78
	v_sub_u16_e32 v194, v84, v78
	v_lshlrev_b32_e32 v78, 5, v194
	global_load_dwordx4 v[98:101], v78, s[8:9] offset:1248
	global_load_dwordx4 v[112:115], v78, s[8:9] offset:1264
	v_mul_u32_u24_sdwa v78, v85, s0 dst_sel:DWORD dst_unused:UNUSED_PAD src0_sel:WORD_0 src1_sel:DWORD
	v_lshrrev_b32_e32 v195, 21, v78
	v_mul_lo_u16_e32 v78, 0x51, v195
	v_sub_u16_e32 v196, v85, v78
	v_lshlrev_b32_e32 v78, 5, v196
	global_load_dwordx4 v[116:119], v78, s[8:9] offset:1264
	global_load_dwordx4 v[149:152], v78, s[8:9] offset:1248
	v_mul_u32_u24_sdwa v78, v83, s0 dst_sel:DWORD dst_unused:UNUSED_PAD src0_sel:WORD_0 src1_sel:DWORD
	v_lshrrev_b32_e32 v197, 21, v78
	v_mul_lo_u16_e32 v78, 0x51, v197
	v_sub_u16_e32 v198, v83, v78
	v_mul_u32_u24_sdwa v78, v86, s0 dst_sel:DWORD dst_unused:UNUSED_PAD src0_sel:WORD_0 src1_sel:DWORD
	v_lshrrev_b32_e32 v78, 21, v78
	v_mul_lo_u16_e32 v78, 0x51, v78
	v_sub_u16_e32 v199, v86, v78
	v_lshlrev_b32_e32 v78, 5, v199
	global_load_dwordx4 v[153:156], v78, s[8:9] offset:1248
	v_lshlrev_b32_e32 v82, 5, v198
	global_load_dwordx4 v[157:160], v78, s[8:9] offset:1264
	global_load_dwordx4 v[174:177], v82, s[8:9] offset:1248
	;; [unrolled: 1-line block ×3, first 2 shown]
	global_load_dwordx4 v[182:185], v[102:103], off offset:1248
	v_mul_u32_u24_sdwa v78, v79, s0 dst_sel:DWORD dst_unused:UNUSED_PAD src0_sel:WORD_0 src1_sel:DWORD
	v_lshrrev_b32_e32 v200, 21, v78
	v_mul_lo_u16_e32 v78, 0x51, v200
	v_sub_u16_e32 v201, v79, v78
	v_lshlrev_b32_e32 v78, 5, v201
	ds_read2_b64 v[82:85], v166 offset0:110 offset1:173
	global_load_dwordx4 v[186:189], v78, s[8:9] offset:1264
	global_load_dwordx4 v[190:193], v78, s[8:9] offset:1248
	ds_read2_b64 v[108:111], v169 offset0:118 offset1:181
	v_cmp_lt_u32_e64 s[0:1], 17, v162
	s_waitcnt vmcnt(17) lgkmcnt(1)
	v_mul_f64 v[78:79], v[82:83], v[54:55]
	v_mul_f64 v[54:55], v[48:49], v[54:55]
	s_waitcnt vmcnt(16)
	v_mul_f64 v[102:103], v[84:85], v[60:61]
	v_mul_f64 v[60:61], v[50:51], v[60:61]
	v_fma_f64 v[130:131], v[48:49], v[52:53], v[78:79]
	s_waitcnt vmcnt(15) lgkmcnt(0)
	v_mul_f64 v[78:79], v[108:109], v[64:65]
	v_mul_f64 v[64:65], v[44:45], v[64:65]
	v_fma_f64 v[104:105], v[82:83], v[52:53], -v[54:55]
	ds_read2_b64 v[52:55], v148 offset0:116 offset1:179
	v_fma_f64 v[132:133], v[50:51], v[58:59], v[102:103]
	ds_read2_b64 v[48:51], v168 offset0:108 offset1:171
	v_fma_f64 v[106:107], v[84:85], v[58:59], -v[60:61]
	s_waitcnt vmcnt(14)
	v_mul_f64 v[58:59], v[110:111], v[68:69]
	v_fma_f64 v[136:137], v[44:45], v[62:63], v[78:79]
	v_fma_f64 v[142:143], v[108:109], v[62:63], -v[64:65]
	s_waitcnt vmcnt(13) lgkmcnt(0)
	v_mul_f64 v[44:45], v[48:49], v[72:73]
	v_mul_f64 v[62:63], v[40:41], v[72:73]
	;; [unrolled: 1-line block ×3, first 2 shown]
	s_waitcnt vmcnt(12)
	v_mul_f64 v[64:65], v[50:51], v[76:77]
	v_mul_f64 v[68:69], v[42:43], v[76:77]
	v_fma_f64 v[134:135], v[46:47], v[66:67], v[58:59]
	s_waitcnt vmcnt(11)
	v_mul_f64 v[46:47], v[52:53], v[89:90]
	v_fma_f64 v[138:139], v[40:41], v[70:71], v[44:45]
	v_mul_f64 v[44:45], v[36:37], v[89:90]
	v_fma_f64 v[126:127], v[48:49], v[70:71], -v[62:63]
	s_waitcnt vmcnt(10)
	v_mul_f64 v[48:49], v[54:55], v[100:101]
	v_fma_f64 v[140:141], v[110:111], v[66:67], -v[60:61]
	v_fma_f64 v[110:111], v[42:43], v[74:75], v[64:65]
	ds_read2_b64 v[40:43], v171 offset0:106 offset1:169
	v_fma_f64 v[120:121], v[36:37], v[87:88], v[46:47]
	v_mul_f64 v[36:37], v[38:39], v[100:101]
	v_fma_f64 v[124:125], v[52:53], v[87:88], -v[44:45]
	s_waitcnt vmcnt(9)
	v_mul_f64 v[52:53], v[32:33], v[114:115]
	v_fma_f64 v[76:77], v[50:51], v[74:75], -v[68:69]
	s_waitcnt lgkmcnt(0)
	v_mul_f64 v[50:51], v[40:41], v[114:115]
	ds_read2_b64 v[44:47], v170 offset0:114 offset1:177
	s_waitcnt vmcnt(8)
	v_mul_f64 v[58:59], v[42:43], v[118:119]
	v_fma_f64 v[108:109], v[38:39], v[98:99], v[48:49]
	v_mul_f64 v[38:39], v[34:35], v[118:119]
	v_fma_f64 v[114:115], v[54:55], v[98:99], -v[36:37]
	s_waitcnt vmcnt(7) lgkmcnt(0)
	v_mul_f64 v[36:37], v[44:45], v[151:152]
	v_fma_f64 v[90:91], v[40:41], v[112:113], -v[52:53]
	v_mul_f64 v[40:41], v[28:29], v[151:152]
	v_fma_f64 v[118:119], v[32:33], v[112:113], v[50:51]
	v_fma_f64 v[112:113], v[34:35], v[116:117], v[58:59]
	ds_read2_b64 v[32:35], v173 offset0:112 offset1:175
	v_fma_f64 v[84:85], v[42:43], v[116:117], -v[38:39]
	ds_read_b64 v[42:43], v165 offset:13104
	v_fma_f64 v[122:123], v[28:29], v[149:150], v[36:37]
	ds_read2_b64 v[52:55], v167 offset0:120 offset1:183
	s_waitcnt vmcnt(6) lgkmcnt(2)
	v_mul_f64 v[28:29], v[34:35], v[155:156]
	v_fma_f64 v[128:129], v[44:45], v[149:150], -v[40:41]
	s_waitcnt vmcnt(5) lgkmcnt(1)
	v_mul_f64 v[40:41], v[42:43], v[159:160]
	ds_read2_b64 v[36:39], v81 offset0:104 offset1:167
	s_waitcnt vmcnt(3)
	v_mul_f64 v[58:59], v[24:25], v[180:181]
	v_mul_f64 v[44:45], v[46:47], v[176:177]
	;; [unrolled: 1-line block ×3, first 2 shown]
	v_lshl_add_u32 v177, v194, 3, 0
	v_fma_f64 v[70:71], v[2:3], v[153:154], v[28:29]
	v_mul_f64 v[28:29], v[56:57], v[159:160]
	v_fma_f64 v[72:73], v[56:57], v[157:158], v[40:41]
	s_waitcnt vmcnt(2) lgkmcnt(1)
	v_mul_f64 v[40:41], v[54:55], v[184:185]
	s_waitcnt lgkmcnt(0)
	v_mul_f64 v[50:51], v[36:37], v[180:181]
	v_mul_f64 v[2:3], v[2:3], v[155:156]
	v_fma_f64 v[78:79], v[30:31], v[174:175], v[44:45]
	s_waitcnt vmcnt(0)
	v_mul_f64 v[30:31], v[32:33], v[192:193]
	v_fma_f64 v[74:75], v[36:37], v[178:179], -v[58:59]
	v_fma_f64 v[148:149], v[42:43], v[157:158], -v[28:29]
	v_mul_f64 v[28:29], v[26:27], v[188:189]
	v_fma_f64 v[158:159], v[6:7], v[182:183], v[40:41]
	v_mul_f64 v[6:7], v[6:7], v[184:185]
	v_fma_f64 v[86:87], v[24:25], v[178:179], v[50:51]
	v_mul_f64 v[24:25], v[38:39], v[188:189]
	v_fma_f64 v[82:83], v[34:35], v[153:154], -v[2:3]
	v_fma_f64 v[154:155], v[0:1], v[190:191], v[30:31]
	v_add_f64 v[30:31], v[134:135], v[138:139]
	v_fma_f64 v[150:151], v[38:39], v[186:187], -v[28:29]
	v_add_f64 v[40:41], v[158:159], v[130:131]
	v_fma_f64 v[160:161], v[54:55], v[182:183], -v[6:7]
	v_add_f64 v[6:7], v[20:21], v[158:159]
	v_fma_f64 v[152:153], v[26:27], v[186:187], v[24:25]
	v_add_f64 v[26:27], v[136:137], v[132:133]
	ds_read2_b64 v[58:61], v80 offset0:124 offset1:187
	ds_read2_b64 v[66:69], v165 offset1:63
	ds_read2_b64 v[62:65], v165 offset0:126 offset1:189
	ds_read2_b64 v[54:57], v172 offset0:122 offset1:185
	s_waitcnt lgkmcnt(0)
	; wave barrier
	s_waitcnt lgkmcnt(0)
	v_fma_f64 v[20:21], v[40:41], -0.5, v[20:21]
	v_add_f64 v[24:25], v[160:161], -v[104:105]
	v_add_f64 v[6:7], v[6:7], v[130:131]
	v_fma_f64 v[88:89], v[46:47], v[174:175], -v[48:49]
	v_mul_f64 v[34:35], v[0:1], v[192:193]
	v_add_u32_e32 v178, 0x1400, v177
	v_add_f64 v[2:3], v[70:71], v[72:73]
	v_add_f64 v[36:37], v[82:83], -v[148:149]
	v_lshl_add_u32 v182, v199, 3, 0
	v_fma_f64 v[28:29], v[24:25], s[4:5], v[20:21]
	v_fma_f64 v[20:21], v[24:25], s[6:7], v[20:21]
	v_fma_f64 v[24:25], v[26:27], -0.5, v[22:23]
	v_add_f64 v[22:23], v[22:23], v[136:137]
	v_add_f64 v[26:27], v[142:143], -v[106:107]
	ds_write2_b64 v165, v[6:7], v[28:29] offset1:81
	ds_write_b64 v165, v[20:21] offset:1296
	v_mov_b32_e32 v28, 0x798
	v_fma_f64 v[156:157], v[32:33], v[190:191], -v[34:35]
	v_add_f64 v[6:7], v[22:23], v[132:133]
	v_fma_f64 v[20:21], v[26:27], s[4:5], v[24:25]
	v_fma_f64 v[22:23], v[26:27], s[6:7], v[24:25]
	v_add_f64 v[24:25], v[16:17], v[134:135]
	v_fma_f64 v[16:17], v[30:31], -0.5, v[16:17]
	v_add_f64 v[26:27], v[140:141], -v[126:127]
	v_cndmask_b32_e64 v30, 0, v28, s[0:1]
	v_add_f64 v[28:29], v[120:121], v[110:111]
	v_lshlrev_b32_e32 v31, 3, v93
	v_add3_u32 v174, 0, v30, v31
	ds_write2_b64 v174, v[6:7], v[20:21] offset1:81
	ds_write_b64 v174, v[22:23] offset:1296
	v_add_f64 v[6:7], v[24:25], v[138:139]
	v_add_f64 v[24:25], v[124:125], -v[76:77]
	v_fma_f64 v[20:21], v[26:27], s[4:5], v[16:17]
	v_fma_f64 v[16:17], v[26:27], s[6:7], v[16:17]
	v_fma_f64 v[22:23], v[28:29], -0.5, v[18:19]
	v_add_f64 v[18:19], v[18:19], v[120:121]
	v_add_f64 v[26:27], v[108:109], v[118:119]
	v_mul_u32_u24_e32 v28, 0x798, v95
	v_lshlrev_b32_sdwa v29, v92, v94 dst_sel:DWORD dst_unused:UNUSED_PAD src0_sel:DWORD src1_sel:BYTE_0
	v_add3_u32 v175, 0, v28, v29
	ds_write2_b64 v175, v[6:7], v[20:21] offset1:81
	ds_write_b64 v175, v[16:17] offset:1296
	v_add_f64 v[20:21], v[114:115], -v[90:91]
	v_fma_f64 v[16:17], v[24:25], s[4:5], v[22:23]
	v_add_f64 v[6:7], v[18:19], v[110:111]
	v_add_f64 v[18:19], v[12:13], v[108:109]
	v_fma_f64 v[12:13], v[26:27], -0.5, v[12:13]
	v_fma_f64 v[22:23], v[24:25], s[6:7], v[22:23]
	v_add_f64 v[24:25], v[122:123], v[112:113]
	v_lshlrev_b32_sdwa v26, v92, v97 dst_sel:DWORD dst_unused:UNUSED_PAD src0_sel:DWORD src1_sel:BYTE_0
	v_mul_u32_u24_e32 v27, 0x798, v96
	v_add3_u32 v176, 0, v27, v26
	ds_write2_b64 v176, v[6:7], v[16:17] offset1:81
	v_add_f64 v[6:7], v[18:19], v[118:119]
	v_fma_f64 v[16:17], v[20:21], s[4:5], v[12:13]
	v_fma_f64 v[12:13], v[20:21], s[6:7], v[12:13]
	v_fma_f64 v[18:19], v[24:25], -0.5, v[14:15]
	v_add_f64 v[14:15], v[14:15], v[122:123]
	v_add_f64 v[20:21], v[128:129], -v[84:85]
	ds_write_b64 v176, v[22:23] offset:1296
	ds_write2_b64 v178, v[6:7], v[16:17] offset0:89 offset1:170
	ds_write_b64 v177, v[12:13] offset:7128
	v_mul_u32_u24_e32 v22, 0x798, v195
	v_add_f64 v[6:7], v[78:79], v[86:87]
	v_add_f64 v[12:13], v[14:15], v[112:113]
	v_fma_f64 v[14:15], v[20:21], s[4:5], v[18:19]
	v_fma_f64 v[16:17], v[20:21], s[6:7], v[18:19]
	v_lshlrev_b32_e32 v20, 3, v196
	v_add_f64 v[18:19], v[154:155], v[152:153]
	v_add3_u32 v179, 0, v22, v20
	v_add_f64 v[20:21], v[8:9], v[78:79]
	v_fma_f64 v[2:3], v[2:3], -0.5, v[4:5]
	v_fma_f64 v[6:7], v[6:7], -0.5, v[8:9]
	v_add_f64 v[8:9], v[88:89], -v[74:75]
	ds_write2_b64 v179, v[12:13], v[14:15] offset1:81
	ds_write_b64 v179, v[16:17] offset:1296
	v_add_f64 v[14:15], v[156:157], -v[150:151]
	v_fma_f64 v[12:13], v[18:19], -0.5, v[10:11]
	v_add_f64 v[10:11], v[10:11], v[154:155]
	v_add_f64 v[16:17], v[20:21], v[86:87]
	;; [unrolled: 1-line block ×3, first 2 shown]
	v_mul_u32_u24_e32 v24, 0x798, v197
	v_lshlrev_b32_e32 v4, 3, v198
	v_fma_f64 v[0:1], v[36:37], s[4:5], v[2:3]
	v_fma_f64 v[18:19], v[8:9], s[4:5], v[6:7]
	;; [unrolled: 1-line block ×3, first 2 shown]
	v_add3_u32 v180, 0, v24, v4
	v_add_f64 v[4:5], v[10:11], v[152:153]
	v_fma_f64 v[6:7], v[14:15], s[4:5], v[12:13]
	v_add_f64 v[10:11], v[20:21], v[72:73]
	v_fma_f64 v[2:3], v[36:37], s[6:7], v[2:3]
	v_fma_f64 v[8:9], v[14:15], s[6:7], v[12:13]
	v_mul_u32_u24_e32 v12, 0x798, v200
	v_lshlrev_b32_e32 v13, 3, v201
	v_add3_u32 v181, 0, v12, v13
	v_add_u32_e32 v183, 0x2c00, v182
	ds_write2_b64 v180, v[16:17], v[18:19] offset1:81
	ds_write_b64 v180, v[22:23] offset:1296
	ds_write2_b64 v181, v[4:5], v[6:7] offset1:81
	ds_write_b64 v181, v[8:9] offset:1296
	ds_write2_b64 v183, v[10:11], v[0:1] offset0:50 offset1:131
	ds_write_b64 v182, v[2:3] offset:12960
	s_waitcnt lgkmcnt(0)
	; wave barrier
	s_waitcnt lgkmcnt(0)
	ds_read_b64 v[80:81], v165 offset:12672
	ds_read2_b64 v[24:27], v165 offset1:63
	ds_read2_b64 v[28:31], v165 offset0:126 offset1:243
	ds_read2_b64 v[44:47], v167 offset0:102 offset1:165
	ds_read2_b64 v[40:43], v169 offset0:100 offset1:217
	ds_read2_b64 v[32:35], v173 offset0:76 offset1:139
	ds_read2_b64 v[48:51], v166 offset0:74 offset1:191
	ds_read2_b64 v[36:39], v171 offset0:178 offset1:241
	ds_read2_b64 v[96:99], v172 offset0:50 offset1:113
	ds_read2_b64 v[92:95], v170 offset0:24 offset1:87
	ds_read2_b64 v[100:103], v168 offset0:126 offset1:189
	v_cmp_gt_u32_e64 s[0:1], 54, v162
                                        ; implicit-def: $vgpr116_vgpr117
	s_and_saveexec_b64 s[10:11], s[0:1]
	s_cbranch_execz .LBB0_15
; %bb.14:
	v_add_u32_e32 v0, 0x5c0, v165
	ds_read2_b64 v[4:7], v0 offset0:5 offset1:248
	v_add_u32_e32 v0, 0x1500, v165
	ds_read2_b64 v[8:11], v0 offset0:3 offset1:246
	ds_read2_b64 v[0:3], v168 offset0:9 offset1:252
	ds_read_b64 v[116:117], v165 offset:13176
.LBB0_15:
	s_or_b64 exec, exec, s[10:11]
	v_add_f64 v[12:13], v[160:161], v[104:105]
	v_add_f64 v[14:15], v[142:143], v[106:107]
	;; [unrolled: 1-line block ×3, first 2 shown]
	v_add_f64 v[18:19], v[158:159], -v[130:131]
	v_add_f64 v[130:131], v[140:141], v[126:127]
	v_add_f64 v[22:23], v[136:137], -v[132:133]
	v_add_f64 v[20:21], v[68:69], v[142:143]
	v_add_f64 v[132:133], v[124:125], v[76:77]
	v_fma_f64 v[12:13], v[12:13], -0.5, v[66:67]
	v_fma_f64 v[14:15], v[14:15], -0.5, v[68:69]
	v_add_f64 v[68:69], v[134:135], -v[138:139]
	v_add_f64 v[104:105], v[16:17], v[104:105]
	v_fma_f64 v[16:17], v[130:131], -0.5, v[62:63]
	v_add_f64 v[66:67], v[62:63], v[140:141]
	v_add_f64 v[106:107], v[20:21], v[106:107]
	v_add_f64 v[20:21], v[120:121], -v[110:111]
	v_fma_f64 v[62:63], v[18:19], s[6:7], v[12:13]
	v_fma_f64 v[130:131], v[18:19], s[4:5], v[12:13]
	;; [unrolled: 1-line block ×4, first 2 shown]
	v_add_f64 v[12:13], v[114:115], v[90:91]
	v_add_f64 v[14:15], v[64:65], v[124:125]
	v_fma_f64 v[18:19], v[132:133], -0.5, v[64:65]
	v_fma_f64 v[64:65], v[68:69], s[6:7], v[16:17]
	v_fma_f64 v[68:69], v[68:69], s[4:5], v[16:17]
	v_add_f64 v[16:17], v[58:59], v[114:115]
	v_add_f64 v[22:23], v[128:129], v[84:85]
	v_add_f64 v[70:71], v[70:71], -v[72:73]
	v_fma_f64 v[12:13], v[12:13], -0.5, v[58:59]
	v_add_f64 v[58:59], v[108:109], -v[118:119]
	v_add_f64 v[76:77], v[14:15], v[76:77]
	v_add_f64 v[14:15], v[60:61], v[128:129]
	v_fma_f64 v[108:109], v[20:21], s[6:7], v[18:19]
	v_add_f64 v[90:91], v[16:17], v[90:91]
	v_add_f64 v[16:17], v[88:89], v[74:75]
	v_fma_f64 v[22:23], v[22:23], -0.5, v[60:61]
	v_add_f64 v[60:61], v[122:123], -v[112:113]
	v_fma_f64 v[112:113], v[58:59], s[6:7], v[12:13]
	v_fma_f64 v[58:59], v[58:59], s[4:5], v[12:13]
	v_add_f64 v[84:85], v[14:15], v[84:85]
	v_add_f64 v[12:13], v[156:157], v[150:151]
	;; [unrolled: 1-line block ×3, first 2 shown]
	v_fma_f64 v[110:111], v[20:21], s[4:5], v[18:19]
	v_add_f64 v[18:19], v[54:55], v[88:89]
	v_fma_f64 v[16:17], v[16:17], -0.5, v[54:55]
	v_add_f64 v[20:21], v[78:79], -v[86:87]
	v_fma_f64 v[114:115], v[60:61], s[6:7], v[22:23]
	v_fma_f64 v[60:61], v[60:61], s[4:5], v[22:23]
	v_add_f64 v[22:23], v[56:57], v[156:157]
	v_fma_f64 v[54:55], v[12:13], -0.5, v[56:57]
	v_add_f64 v[56:57], v[154:155], -v[152:153]
	v_add_f64 v[78:79], v[52:53], v[82:83]
	v_fma_f64 v[52:53], v[14:15], -0.5, v[52:53]
	v_add_f64 v[66:67], v[66:67], v[126:127]
	v_add_f64 v[72:73], v[18:19], v[74:75]
	v_fma_f64 v[74:75], v[20:21], s[6:7], v[16:17]
	v_fma_f64 v[82:83], v[20:21], s[4:5], v[16:17]
	v_add_f64 v[12:13], v[22:23], v[150:151]
	v_fma_f64 v[14:15], v[56:57], s[6:7], v[54:55]
	v_fma_f64 v[16:17], v[56:57], s[4:5], v[54:55]
	;; [unrolled: 3-line block ×3, first 2 shown]
	s_waitcnt lgkmcnt(0)
	; wave barrier
	s_waitcnt lgkmcnt(0)
	ds_write2_b64 v165, v[104:105], v[62:63] offset1:81
	ds_write_b64 v165, v[130:131] offset:1296
	ds_write2_b64 v174, v[106:107], v[134:135] offset1:81
	ds_write_b64 v174, v[136:137] offset:1296
	;; [unrolled: 2-line block ×4, first 2 shown]
	ds_write2_b64 v178, v[90:91], v[112:113] offset0:89 offset1:170
	ds_write_b64 v177, v[58:59] offset:7128
	ds_write2_b64 v179, v[84:85], v[114:115] offset1:81
	ds_write_b64 v179, v[60:61] offset:1296
	ds_write2_b64 v180, v[72:73], v[74:75] offset1:81
	;; [unrolled: 2-line block ×3, first 2 shown]
	ds_write_b64 v181, v[16:17] offset:1296
	ds_write2_b64 v183, v[18:19], v[20:21] offset0:50 offset1:131
	ds_write_b64 v182, v[22:23] offset:12960
	s_waitcnt lgkmcnt(0)
	; wave barrier
	s_waitcnt lgkmcnt(0)
	ds_read2_b64 v[52:55], v165 offset1:63
	ds_read2_b64 v[68:71], v165 offset0:126 offset1:243
	ds_read2_b64 v[64:67], v167 offset0:102 offset1:165
	;; [unrolled: 1-line block ×9, first 2 shown]
	ds_read_b64 v[82:83], v165 offset:12672
                                        ; implicit-def: $vgpr118_vgpr119
	s_and_saveexec_b64 s[4:5], s[0:1]
	s_cbranch_execz .LBB0_17
; %bb.16:
	v_add_u32_e32 v12, 0x5c0, v165
	v_add_u32_e32 v16, 0x1500, v165
	;; [unrolled: 1-line block ×3, first 2 shown]
	ds_read2_b64 v[12:15], v12 offset0:5 offset1:248
	ds_read2_b64 v[16:19], v16 offset0:3 offset1:246
	;; [unrolled: 1-line block ×3, first 2 shown]
	ds_read_b64 v[118:119], v165 offset:13176
.LBB0_17:
	s_or_b64 exec, exec, s[4:5]
	s_and_saveexec_b64 s[4:5], vcc
	s_cbranch_execz .LBB0_20
; %bb.18:
	v_mul_u32_u24_e32 v84, 6, v164
	v_lshlrev_b32_e32 v120, 4, v84
	global_load_dwordx4 v[84:87], v120, s[8:9] offset:3840
	global_load_dwordx4 v[88:91], v120, s[8:9] offset:3920
	;; [unrolled: 1-line block ×6, first 2 shown]
	v_mov_b32_e32 v120, 0xfffffe86
	v_mov_b32_e32 v121, 0
	v_mad_u32_u24 v120, v164, 6, v120
	v_lshlrev_b64 v[122:123], 4, v[120:121]
	v_mov_b32_e32 v140, s9
	v_add_co_u32_e32 v164, vcc, s8, v122
	v_addc_co_u32_e32 v165, vcc, v140, v123, vcc
	global_load_dwordx4 v[140:143], v[164:165], off offset:3888
	v_mul_lo_u32 v120, s3, v146
	v_mul_lo_u32 v180, s2, v147
	v_mad_u64_u32 v[122:123], s[2:3], s2, v146, 0
	global_load_dwordx4 v[146:149], v[164:165], off offset:3872
	global_load_dwordx4 v[150:153], v[164:165], off offset:3856
	;; [unrolled: 1-line block ×4, first 2 shown]
	s_nop 0
	global_load_dwordx4 v[164:167], v[164:165], off offset:3904
	s_mov_b32 s20, 0xe976ee23
	s_mov_b32 s18, 0x36b3c0b5
	;; [unrolled: 1-line block ×21, first 2 shown]
	s_movk_i32 s26, 0xf3
	v_add3_u32 v123, v123, v180, v120
	s_movk_i32 s29, 0x6a5
	s_movk_i32 s28, 0x5000
	s_waitcnt vmcnt(11) lgkmcnt(3)
	v_mul_f64 v[168:169], v[114:115], v[86:87]
	s_waitcnt vmcnt(10) lgkmcnt(0)
	v_mul_f64 v[170:171], v[82:83], v[90:91]
	v_mul_f64 v[90:91], v[80:81], v[90:91]
	;; [unrolled: 1-line block ×3, first 2 shown]
	s_waitcnt vmcnt(7)
	v_mul_f64 v[176:177], v[56:57], v[134:135]
	s_waitcnt vmcnt(6)
	v_mul_f64 v[178:179], v[110:111], v[138:139]
	v_mul_f64 v[138:139], v[102:103], v[138:139]
	;; [unrolled: 1-line block ×7, first 2 shown]
	v_fma_f64 v[98:99], v[98:99], v[84:85], v[168:169]
	v_fma_f64 v[82:83], v[82:83], v[88:89], -v[90:91]
	v_fma_f64 v[84:85], v[114:115], v[84:85], -v[86:87]
	;; [unrolled: 1-line block ×4, first 2 shown]
	v_fma_f64 v[80:81], v[80:81], v[88:89], v[170:171]
	v_fma_f64 v[48:49], v[48:49], v[124:125], v[172:173]
	v_fma_f64 v[94:95], v[94:95], v[128:129], v[174:175]
	v_fma_f64 v[40:41], v[40:41], v[132:133], v[176:177]
	v_fma_f64 v[102:103], v[102:103], v[136:137], v[178:179]
	v_fma_f64 v[88:89], v[106:107], v[128:129], -v[130:131]
	v_fma_f64 v[72:73], v[72:73], v[124:125], -v[126:127]
	v_add_f64 v[124:125], v[84:85], v[82:83]
	v_add_f64 v[126:127], v[56:57], v[86:87]
	v_add_f64 v[90:91], v[98:99], -v[80:81]
	v_add_f64 v[110:111], v[48:49], -v[94:95]
	v_add_f64 v[80:81], v[98:99], v[80:81]
	v_add_f64 v[114:115], v[40:41], -v[102:103]
	v_add_f64 v[40:41], v[40:41], v[102:103]
	v_add_f64 v[128:129], v[72:73], v[88:89]
	;; [unrolled: 1-line block ×3, first 2 shown]
	v_add_f64 v[72:73], v[72:73], -v[88:89]
	v_add_f64 v[56:57], v[56:57], -v[86:87]
	;; [unrolled: 1-line block ×3, first 2 shown]
	v_add_f64 v[94:95], v[124:125], v[126:127]
	v_add_f64 v[84:85], v[90:91], -v[110:111]
	v_add_f64 v[86:87], v[110:111], -v[114:115]
	v_add_f64 v[88:89], v[110:111], v[114:115]
	v_add_f64 v[102:103], v[128:129], -v[126:127]
	v_add_f64 v[110:111], v[80:81], v[40:41]
	v_add_f64 v[132:133], v[48:49], -v[40:41]
	v_add_f64 v[136:137], v[72:73], -v[56:57]
	;; [unrolled: 1-line block ×4, first 2 shown]
	v_add_f64 v[72:73], v[72:73], v[56:57]
	v_add_f64 v[114:115], v[114:115], -v[90:91]
	v_add_f64 v[94:95], v[128:129], v[94:95]
	v_add_f64 v[130:131], v[80:81], -v[48:49]
	v_add_f64 v[56:57], v[56:57], -v[82:83]
	v_mul_f64 v[102:103], v[102:103], s[18:19]
	v_add_f64 v[48:49], v[48:49], v[110:111]
	v_mul_f64 v[128:129], v[132:133], s[18:19]
	v_mul_f64 v[132:133], v[136:137], s[20:21]
	v_add_f64 v[124:125], v[126:127], -v[124:125]
	v_add_f64 v[40:41], v[40:41], -v[80:81]
	v_mul_f64 v[80:81], v[86:87], s[20:21]
	v_add_f64 v[86:87], v[90:91], v[88:89]
	v_mul_f64 v[126:127], v[98:99], s[24:25]
	v_add_f64 v[72:73], v[82:83], v[72:73]
	;; [unrolled: 2-line block ×3, first 2 shown]
	v_mul_f64 v[110:111], v[130:131], s[24:25]
	v_mul_f64 v[136:137], v[56:57], s[12:13]
	v_fma_f64 v[68:69], v[98:99], s[24:25], v[102:103]
	v_add_f64 v[88:89], v[28:29], v[48:49]
	v_fma_f64 v[98:99], v[134:135], s[6:7], v[132:133]
	v_fma_f64 v[138:139], v[84:85], s[6:7], v[80:81]
	v_fma_f64 v[82:83], v[84:85], s[10:11], -v[82:83]
	v_fma_f64 v[84:85], v[124:125], s[16:17], -v[126:127]
	;; [unrolled: 1-line block ×3, first 2 shown]
	v_fma_f64 v[94:95], v[94:95], s[4:5], v[90:91]
	v_fma_f64 v[28:29], v[130:131], s[24:25], v[128:129]
	v_fma_f64 v[110:111], v[40:41], s[16:17], -v[110:111]
	v_fma_f64 v[126:127], v[134:135], s[10:11], -v[136:137]
	;; [unrolled: 1-line block ×3, first 2 shown]
	v_fma_f64 v[48:49], v[48:49], s[4:5], v[88:89]
	v_fma_f64 v[56:57], v[56:57], s[12:13], -v[132:133]
	v_fma_f64 v[128:129], v[72:73], s[2:3], v[98:99]
	s_waitcnt vmcnt(0)
	v_mul_f64 v[98:99], v[108:109], v[166:167]
	v_add_f64 v[136:137], v[68:69], v[94:95]
	v_add_f64 v[68:69], v[84:85], v[94:95]
	v_add_f64 v[168:169], v[102:103], v[94:95]
	v_mul_f64 v[94:95], v[104:105], v[148:149]
	v_fma_f64 v[132:133], v[72:73], s[2:3], v[126:127]
	v_fma_f64 v[56:57], v[72:73], s[2:3], v[56:57]
	v_add_f64 v[72:73], v[40:41], v[48:49]
	v_mul_f64 v[40:41], v[66:67], v[152:153]
	v_fma_f64 v[170:171], v[100:101], v[164:165], v[98:99]
	v_mul_f64 v[98:99], v[46:47], v[152:153]
	v_mul_f64 v[106:107], v[62:63], v[142:143]
	v_fma_f64 v[80:81], v[114:115], s[12:13], -v[80:81]
	v_fma_f64 v[114:115], v[86:87], s[2:3], v[138:139]
	v_add_f64 v[138:139], v[110:111], v[48:49]
	v_mul_f64 v[102:103], v[38:39], v[160:161]
	v_mul_f64 v[110:111], v[96:97], v[156:157]
	v_mul_f64 v[124:125], v[112:113], v[156:157]
	v_mul_f64 v[126:127], v[78:79], v[160:161]
	v_fma_f64 v[160:161], v[92:93], v[146:147], v[94:95]
	v_mul_f64 v[94:95], v[100:101], v[166:167]
	v_fma_f64 v[40:41], v[46:47], v[150:151], v[40:41]
	v_fma_f64 v[150:151], v[66:67], v[150:151], -v[98:99]
	v_mul_u32_u24_e32 v66, 6, v162
	v_lshlrev_b32_e32 v66, 4, v66
	v_fma_f64 v[156:157], v[34:35], v[140:141], v[106:107]
	v_fma_f64 v[78:79], v[78:79], v[158:159], -v[102:103]
	v_fma_f64 v[172:173], v[112:113], v[154:155], -v[110:111]
	v_fma_f64 v[152:153], v[96:97], v[154:155], v[124:125]
	v_fma_f64 v[154:155], v[38:39], v[158:159], v[126:127]
	v_fma_f64 v[164:165], v[108:109], v[164:165], -v[94:95]
	v_mul_f64 v[38:39], v[92:93], v[148:149]
	global_load_dwordx4 v[92:95], v66, s[8:9] offset:3856
	global_load_dwordx4 v[96:99], v66, s[8:9] offset:3840
	;; [unrolled: 1-line block ×6, first 2 shown]
	v_mul_f64 v[34:35], v[34:35], v[142:143]
	v_fma_f64 v[130:131], v[86:87], s[2:3], v[82:83]
	v_add_f64 v[174:175], v[172:173], v[78:79]
	v_fma_f64 v[134:135], v[86:87], s[2:3], v[80:81]
	v_add_f64 v[142:143], v[150:151], v[164:165]
	v_fma_f64 v[104:105], v[104:105], v[146:147], -v[38:39]
	v_add_f64 v[46:47], v[56:57], v[72:73]
	v_add_f64 v[38:39], v[72:73], -v[56:57]
	v_fma_f64 v[34:35], v[62:63], v[140:141], -v[34:35]
	v_add_f64 v[62:63], v[152:153], v[154:155]
	v_add_f64 v[140:141], v[40:41], v[170:171]
	;; [unrolled: 1-line block ×3, first 2 shown]
	v_add_f64 v[68:69], v[68:69], -v[130:131]
	v_add_f64 v[56:57], v[174:175], v[142:143]
	v_add_f64 v[148:149], v[156:157], v[160:161]
	v_add_f64 v[84:85], v[138:139], -v[132:133]
	v_add_f64 v[130:131], v[34:35], v[104:105]
	v_add_f64 v[158:159], v[156:157], -v[160:161]
	;; [unrolled: 2-line block ×3, first 2 shown]
	v_add_f64 v[72:73], v[152:153], -v[154:155]
	v_add_f64 v[66:67], v[132:133], v[138:139]
	v_add_f64 v[34:35], v[34:35], -v[104:105]
	v_add_f64 v[104:105], v[150:151], -v[164:165]
	v_add_f64 v[132:133], v[130:131], v[56:57]
	v_add_f64 v[154:155], v[148:149], -v[140:141]
	v_add_f64 v[146:147], v[148:149], v[146:147]
	;; [unrolled: 2-line block ×6, first 2 shown]
	v_add_f64 v[54:55], v[26:27], v[146:147]
	v_add_f64 v[26:27], v[62:63], -v[148:149]
	v_mul_f64 v[148:149], v[154:155], s[18:19]
	v_add_f64 v[154:155], v[78:79], -v[34:35]
	v_add_f64 v[34:35], v[34:35], v[104:105]
	v_add_f64 v[138:139], v[72:73], -v[158:159]
	v_mul_f64 v[150:151], v[134:135], s[20:21]
	v_add_f64 v[134:135], v[130:131], -v[142:143]
	v_add_f64 v[152:153], v[72:73], v[152:153]
	v_add_f64 v[72:73], v[166:167], -v[72:73]
	v_add_f64 v[130:131], v[174:175], -v[130:131]
	v_mul_f64 v[156:157], v[156:157], s[20:21]
	v_add_f64 v[34:35], v[78:79], v[34:35]
	v_add_f64 v[78:79], v[104:105], -v[78:79]
	v_fma_f64 v[164:165], v[26:27], s[24:25], v[148:149]
	v_mul_f64 v[158:159], v[134:135], s[18:19]
	v_mul_f64 v[26:27], v[26:27], s[24:25]
	;; [unrolled: 1-line block ×3, first 2 shown]
	v_add_f64 v[62:63], v[140:141], -v[62:63]
	v_add_f64 v[82:83], v[114:115], v[136:137]
	v_add_f64 v[80:81], v[28:29], -v[128:129]
	v_mul_f64 v[140:141], v[78:79], s[12:13]
	v_fma_f64 v[160:161], v[132:133], s[4:5], v[56:57]
	v_fma_f64 v[132:133], v[130:131], s[24:25], v[158:159]
	;; [unrolled: 1-line block ×4, first 2 shown]
	v_mul_f64 v[170:171], v[130:131], s[24:25]
	v_add_f64 v[142:143], v[142:143], -v[174:175]
	v_add_f64 v[130:131], v[136:137], -v[114:115]
	v_add_f64 v[128:129], v[128:129], v[28:29]
	v_fma_f64 v[28:29], v[138:139], s[10:11], -v[172:173]
	v_fma_f64 v[26:27], v[62:63], s[16:17], -v[26:27]
	;; [unrolled: 1-line block ×5, first 2 shown]
	v_fma_f64 v[134:135], v[138:139], s[6:7], v[150:151]
	v_add_f64 v[164:165], v[164:165], v[146:147]
	v_fma_f64 v[168:169], v[34:35], s[2:3], v[168:169]
	v_fma_f64 v[114:115], v[142:143], s[16:17], -v[170:171]
	v_fma_f64 v[138:139], v[142:143], s[22:23], -v[158:159]
	;; [unrolled: 1-line block ×3, first 2 shown]
	v_fma_f64 v[140:141], v[152:153], s[2:3], v[28:29]
	v_add_f64 v[26:27], v[26:27], v[146:147]
	v_fma_f64 v[136:137], v[34:35], s[2:3], v[136:137]
	v_add_f64 v[62:63], v[62:63], v[146:147]
	v_fma_f64 v[78:79], v[34:35], s[2:3], v[78:79]
	s_waitcnt vmcnt(4)
	v_mul_f64 v[28:29], v[70:71], v[98:99]
	s_waitcnt vmcnt(3)
	v_mul_f64 v[34:35], v[76:77], v[102:103]
	;; [unrolled: 2-line block ×4, first 2 shown]
	v_mul_f64 v[148:149], v[64:65], v[94:95]
	s_waitcnt vmcnt(0)
	v_mul_f64 v[150:151], v[74:75], v[126:127]
	v_mul_f64 v[102:103], v[36:37], v[102:103]
	;; [unrolled: 1-line block ×5, first 2 shown]
	v_fma_f64 v[142:143], v[32:33], v[106:107], v[142:143]
	v_fma_f64 v[146:147], v[42:43], v[110:111], v[146:147]
	;; [unrolled: 1-line block ×4, first 2 shown]
	v_fma_f64 v[76:77], v[76:77], v[100:101], -v[102:103]
	v_fma_f64 v[70:71], v[70:71], v[96:97], -v[98:99]
	;; [unrolled: 1-line block ×4, first 2 shown]
	v_mul_f64 v[42:43], v[42:43], v[112:113]
	v_mul_f64 v[32:33], v[32:33], v[108:109]
	v_fma_f64 v[92:93], v[30:31], v[96:97], v[28:29]
	v_fma_f64 v[36:37], v[36:37], v[100:101], v[34:35]
	v_add_f64 v[94:95], v[142:143], -v[146:147]
	v_add_f64 v[96:97], v[44:45], -v[50:51]
	v_add_f64 v[98:99], v[70:71], v[76:77]
	v_add_f64 v[100:101], v[64:65], v[74:75]
	v_fma_f64 v[102:103], v[58:59], v[110:111], -v[42:43]
	v_fma_f64 v[106:107], v[60:61], v[106:107], -v[32:33]
	v_add_f64 v[28:29], v[26:27], -v[136:137]
	v_add_f64 v[108:109], v[92:93], -v[36:37]
	v_add_f64 v[36:37], v[92:93], v[36:37]
	v_add_f64 v[42:43], v[94:95], -v[96:97]
	v_add_f64 v[92:93], v[44:45], v[50:51]
	v_add_f64 v[58:59], v[98:99], v[100:101]
	v_add_f64 v[32:33], v[78:79], v[62:63]
	v_add_f64 v[110:111], v[106:107], v[102:103]
	v_add_f64 v[114:115], v[114:115], v[160:161]
	v_add_f64 v[138:139], v[138:139], v[160:161]
	v_fma_f64 v[72:73], v[152:153], s[2:3], v[72:73]
	v_mul_f64 v[112:113], v[42:43], s[20:21]
	v_add_f64 v[42:43], v[62:63], -v[78:79]
	v_add_f64 v[62:63], v[142:143], v[146:147]
	v_add_f64 v[102:103], v[106:107], -v[102:103]
	v_add_f64 v[50:51], v[110:111], v[58:59]
	v_add_f64 v[58:59], v[136:137], v[26:27]
	;; [unrolled: 1-line block ×3, first 2 shown]
	v_add_f64 v[64:65], v[64:65], -v[74:75]
	v_add_f64 v[74:75], v[98:99], -v[110:111]
	;; [unrolled: 1-line block ×5, first 2 shown]
	v_add_f64 v[52:53], v[52:53], v[50:51]
	v_add_f64 v[30:31], v[140:141], v[114:115]
	v_add_f64 v[26:27], v[62:63], v[26:27]
	v_add_f64 v[34:35], v[138:139], -v[72:73]
	v_add_f64 v[44:45], v[72:73], v[138:139]
	v_add_f64 v[72:73], v[108:109], -v[94:95]
	v_add_f64 v[60:61], v[114:115], -v[140:141]
	v_add_f64 v[78:79], v[94:95], v[96:97]
	v_add_f64 v[76:77], v[102:103], -v[64:65]
	v_fma_f64 v[114:115], v[50:51], s[4:5], v[52:53]
	v_add_f64 v[50:51], v[24:25], v[26:27]
	v_add_f64 v[24:25], v[36:37], -v[62:63]
	v_mul_f64 v[106:107], v[106:107], s[18:19]
	v_mul_f64 v[62:63], v[110:111], s[18:19]
	v_add_f64 v[110:111], v[70:71], -v[102:103]
	v_add_f64 v[102:103], v[102:103], v[64:65]
	v_add_f64 v[96:97], v[96:97], -v[108:109]
	v_add_f64 v[64:65], v[64:65], -v[70:71]
	v_fma_f64 v[94:95], v[72:73], s[6:7], v[112:113]
	v_add_f64 v[78:79], v[108:109], v[78:79]
	v_mul_f64 v[76:77], v[76:77], s[20:21]
	v_mul_f64 v[108:109], v[24:25], s[24:25]
	v_add_f64 v[36:37], v[92:93], -v[36:37]
	v_mul_f64 v[124:125], v[74:75], s[24:25]
	v_fma_f64 v[74:75], v[74:75], s[24:25], v[106:107]
	v_add_f64 v[70:71], v[70:71], v[102:103]
	v_mul_f64 v[102:103], v[96:97], s[12:13]
	v_add_f64 v[98:99], v[100:101], -v[98:99]
	v_mul_f64 v[92:93], v[64:65], s[12:13]
	v_fma_f64 v[26:27], v[26:27], s[4:5], v[50:51]
	v_fma_f64 v[24:25], v[24:25], s[24:25], v[62:63]
	;; [unrolled: 1-line block ×3, first 2 shown]
	v_fma_f64 v[94:95], v[36:37], s[16:17], -v[108:109]
	v_fma_f64 v[36:37], v[36:37], s[22:23], -v[62:63]
	;; [unrolled: 1-line block ×3, first 2 shown]
	v_fma_f64 v[126:127], v[110:111], s[6:7], v[76:77]
	v_fma_f64 v[166:167], v[152:153], s[2:3], v[134:135]
	v_add_f64 v[104:105], v[132:133], v[160:161]
	v_add_f64 v[138:139], v[74:75], v[114:115]
	v_fma_f64 v[72:73], v[72:73], s[10:11], -v[102:103]
	v_fma_f64 v[74:75], v[98:99], s[16:17], -v[124:125]
	;; [unrolled: 1-line block ×3, first 2 shown]
	v_add_f64 v[24:25], v[24:25], v[26:27]
	v_fma_f64 v[98:99], v[98:99], s[22:23], -v[106:107]
	v_fma_f64 v[96:97], v[96:97], s[12:13], -v[112:113]
	v_add_f64 v[106:107], v[94:95], v[26:27]
	v_add_f64 v[26:27], v[36:37], v[26:27]
	v_fma_f64 v[36:37], v[70:71], s[2:3], v[62:63]
	v_fma_f64 v[126:127], v[70:71], s[2:3], v[126:127]
	v_add_f64 v[134:135], v[166:167], v[104:105]
	v_add_f64 v[64:65], v[104:105], -v[166:167]
	v_mul_hi_u32 v104, v162, s27
	v_fma_f64 v[100:101], v[78:79], s[2:3], v[72:73]
	v_add_f64 v[102:103], v[74:75], v[114:115]
	v_fma_f64 v[108:109], v[70:71], s[2:3], v[92:93]
	v_fma_f64 v[78:79], v[78:79], s[2:3], v[96:97]
	v_add_f64 v[92:93], v[36:37], v[26:27]
	v_add_f64 v[96:97], v[26:27], -v[36:37]
	v_lshrrev_b32_e32 v26, 7, v104
	v_mul_lo_u32 v26, v26, s26
	v_add_f64 v[98:99], v[98:99], v[114:115]
	v_add_f64 v[70:71], v[24:25], -v[126:127]
	v_add_f64 v[104:105], v[126:127], v[24:25]
	v_lshlrev_b64 v[24:25], 4, v[122:123]
	v_add_f64 v[76:77], v[100:101], v[102:103]
	v_add_f64 v[74:75], v[106:107], -v[108:109]
	v_add_f64 v[102:103], v[102:103], -v[100:101]
	v_add_f64 v[100:101], v[108:109], v[106:107]
	v_add_f64 v[106:107], v[138:139], -v[136:137]
	v_sub_u32_e32 v36, v162, v26
	v_mov_b32_e32 v26, s15
	v_add_co_u32_e32 v27, vcc, s14, v24
	v_addc_co_u32_e32 v37, vcc, v26, v25, vcc
	v_lshlrev_b64 v[24:25], 4, v[144:145]
	v_add_f64 v[94:95], v[98:99], -v[78:79]
	v_add_co_u32_e32 v26, vcc, v27, v24
	v_addc_co_u32_e32 v27, vcc, v37, v25, vcc
	v_lshlrev_b32_e32 v24, 4, v36
	v_add_f64 v[98:99], v[78:79], v[98:99]
	v_add_co_u32_e32 v24, vcc, v26, v24
	v_addc_co_u32_e32 v25, vcc, 0, v27, vcc
	global_store_dwordx4 v[24:25], v[50:53], off
	global_store_dwordx4 v[24:25], v[104:107], off offset:3888
	v_add_u32_e32 v50, 63, v162
	s_movk_i32 s14, 0x1000
	v_mul_hi_u32 v51, v50, s27
	v_add_co_u32_e32 v36, vcc, s14, v24
	v_addc_co_u32_e32 v37, vcc, 0, v25, vcc
	s_movk_i32 s14, 0x2000
	global_store_dwordx4 v[36:37], v[100:103], off offset:3680
	v_add_co_u32_e32 v36, vcc, s14, v24
	v_addc_co_u32_e32 v37, vcc, 0, v25, vcc
	s_movk_i32 s14, 0x3000
	v_lshrrev_b32_e32 v51, 7, v51
	global_store_dwordx4 v[36:37], v[96:99], off offset:3472
	v_add_co_u32_e32 v36, vcc, s14, v24
	v_mul_lo_u32 v52, v51, s26
	v_add_f64 v[72:73], v[136:137], v[138:139]
	v_addc_co_u32_e32 v37, vcc, 0, v25, vcc
	s_movk_i32 s14, 0x4000
	global_store_dwordx4 v[36:37], v[92:95], off offset:3264
	v_add_co_u32_e32 v36, vcc, s14, v24
	v_addc_co_u32_e32 v37, vcc, 0, v25, vcc
	global_store_dwordx4 v[36:37], v[74:77], off offset:3056
	v_sub_u32_e32 v36, v50, v52
	v_mad_u64_u32 v[36:37], s[14:15], v51, s29, v[36:37]
	v_add_co_u32_e32 v24, vcc, s28, v24
	v_addc_co_u32_e32 v25, vcc, 0, v25, vcc
	v_mov_b32_e32 v37, v121
	v_add_f64 v[62:63], v[168:169], v[164:165]
	global_store_dwordx4 v[24:25], v[70:73], off offset:2848
	v_lshlrev_b64 v[24:25], 4, v[36:37]
	v_add_u32_e32 v120, 0xf3, v36
	v_add_co_u32_e32 v24, vcc, v26, v24
	v_addc_co_u32_e32 v25, vcc, v27, v25, vcc
	global_store_dwordx4 v[24:25], v[54:57], off
	v_lshlrev_b64 v[24:25], 4, v[120:121]
	v_add_u32_e32 v120, 0x1e6, v36
	v_add_co_u32_e32 v24, vcc, v26, v24
	v_addc_co_u32_e32 v25, vcc, v27, v25, vcc
	global_store_dwordx4 v[24:25], v[62:65], off
	;; [unrolled: 5-line block ×5, first 2 shown]
	v_lshlrev_b64 v[24:25], 4, v[120:121]
	v_add_u32_e32 v32, 0x7e, v162
	v_mul_hi_u32 v33, v32, s27
	v_add_f64 v[132:133], v[164:165], -v[168:169]
	v_add_co_u32_e32 v24, vcc, v26, v24
	v_lshrrev_b32_e32 v33, 7, v33
	v_mul_lo_u32 v34, v33, s26
	v_addc_co_u32_e32 v25, vcc, v27, v25, vcc
	global_store_dwordx4 v[24:25], v[28:31], off
	v_add_u32_e32 v120, 0x5b2, v36
	v_sub_u32_e32 v28, v32, v34
	v_lshlrev_b64 v[24:25], 4, v[120:121]
	v_mad_u64_u32 v[28:29], s[14:15], v33, s29, v[28:29]
	v_add_co_u32_e32 v24, vcc, v26, v24
	v_addc_co_u32_e32 v25, vcc, v27, v25, vcc
	v_mov_b32_e32 v29, v121
	global_store_dwordx4 v[24:25], v[132:135], off
	v_lshlrev_b64 v[24:25], 4, v[28:29]
	v_add_u32_e32 v120, 0xf3, v28
	v_add_co_u32_e32 v24, vcc, v26, v24
	v_addc_co_u32_e32 v25, vcc, v27, v25, vcc
	global_store_dwordx4 v[24:25], v[88:91], off
	v_lshlrev_b64 v[24:25], 4, v[120:121]
	v_add_u32_e32 v120, 0x1e6, v28
	v_add_co_u32_e32 v24, vcc, v26, v24
	v_addc_co_u32_e32 v25, vcc, v27, v25, vcc
	;; [unrolled: 5-line block ×6, first 2 shown]
	global_store_dwordx4 v[24:25], v[84:87], off
	v_lshlrev_b64 v[24:25], 4, v[120:121]
	v_add_co_u32_e32 v24, vcc, v26, v24
	v_addc_co_u32_e32 v25, vcc, v27, v25, vcc
	global_store_dwordx4 v[24:25], v[80:83], off
	v_add_u32_e32 v24, 0xbd, v162
	v_cmp_gt_u32_e32 vcc, s26, v24
	s_and_b64 exec, exec, vcc
	s_cbranch_execz .LBB0_20
; %bb.19:
	v_subrev_u32_e32 v25, 54, v162
	v_cndmask_b32_e64 v25, v25, v163, s[0:1]
	v_mul_i32_i24_e32 v120, 6, v25
	v_lshlrev_b64 v[28:29], 4, v[120:121]
	v_mov_b32_e32 v25, s9
	v_add_co_u32_e32 v52, vcc, s8, v28
	v_addc_co_u32_e32 v53, vcc, v25, v29, vcc
	global_load_dwordx4 v[28:31], v[52:53], off offset:3840
	global_load_dwordx4 v[32:35], v[52:53], off offset:3856
	;; [unrolled: 1-line block ×6, first 2 shown]
	v_mov_b32_e32 v25, v121
	v_lshlrev_b64 v[24:25], 4, v[24:25]
	v_add_u32_e32 v120, 0x1b0, v162
	v_add_co_u32_e32 v24, vcc, v26, v24
	v_lshlrev_b64 v[52:53], 4, v[120:121]
	v_addc_co_u32_e32 v25, vcc, v27, v25, vcc
	v_add_u32_e32 v120, 0x2a3, v162
	v_lshlrev_b64 v[54:55], 4, v[120:121]
	v_add_co_u32_e32 v52, vcc, v26, v52
	v_add_u32_e32 v120, 0x396, v162
	v_addc_co_u32_e32 v53, vcc, v27, v53, vcc
	v_lshlrev_b64 v[56:57], 4, v[120:121]
	v_add_co_u32_e32 v54, vcc, v26, v54
	v_add_u32_e32 v120, 0x489, v162
	v_addc_co_u32_e32 v55, vcc, v27, v55, vcc
	;; [unrolled: 4-line block ×3, first 2 shown]
	v_lshlrev_b64 v[60:61], 4, v[120:121]
	v_add_u32_e32 v120, 0x66f, v162
	s_waitcnt vmcnt(5)
	v_mul_f64 v[62:63], v[14:15], v[30:31]
	v_mul_f64 v[30:31], v[6:7], v[30:31]
	s_waitcnt vmcnt(4)
	v_mul_f64 v[64:65], v[16:17], v[34:35]
	v_mul_f64 v[34:35], v[8:9], v[34:35]
	;; [unrolled: 3-line block ×4, first 2 shown]
	v_mul_f64 v[66:67], v[18:19], v[38:39]
	v_mul_f64 v[38:39], v[10:11], v[38:39]
	;; [unrolled: 1-line block ×4, first 2 shown]
	v_fma_f64 v[6:7], v[6:7], v[28:29], v[62:63]
	v_fma_f64 v[14:15], v[14:15], v[28:29], -v[30:31]
	v_fma_f64 v[8:9], v[8:9], v[32:33], v[64:65]
	v_fma_f64 v[16:17], v[16:17], v[32:33], -v[34:35]
	;; [unrolled: 2-line block ×6, first 2 shown]
	v_add_f64 v[32:33], v[6:7], v[28:29]
	v_add_f64 v[34:35], v[14:15], v[30:31]
	v_add_f64 v[6:7], v[6:7], -v[28:29]
	v_add_f64 v[14:15], v[14:15], -v[30:31]
	v_add_f64 v[28:29], v[8:9], v[2:3]
	v_add_f64 v[30:31], v[16:17], v[22:23]
	v_add_f64 v[2:3], v[8:9], -v[2:3]
	v_add_f64 v[8:9], v[16:17], -v[22:23]
	;; [unrolled: 4-line block ×4, first 2 shown]
	v_add_f64 v[32:33], v[32:33], -v[16:17]
	v_add_f64 v[34:35], v[34:35], -v[22:23]
	;; [unrolled: 1-line block ×4, first 2 shown]
	v_add_f64 v[40:41], v[0:1], v[2:3]
	v_add_f64 v[42:43], v[10:11], v[8:9]
	v_add_f64 v[44:45], v[0:1], -v[2:3]
	v_add_f64 v[46:47], v[10:11], -v[8:9]
	v_add_f64 v[16:17], v[16:17], v[18:19]
	v_add_f64 v[18:19], v[22:23], v[20:21]
	v_add_f64 v[50:51], v[2:3], -v[6:7]
	v_add_f64 v[8:9], v[8:9], -v[14:15]
	;; [unrolled: 1-line block ×4, first 2 shown]
	v_add_f64 v[6:7], v[40:41], v[6:7]
	v_add_f64 v[14:15], v[42:43], v[14:15]
	v_mul_f64 v[20:21], v[32:33], s[24:25]
	v_mul_f64 v[22:23], v[34:35], s[24:25]
	;; [unrolled: 1-line block ×6, first 2 shown]
	v_add_f64 v[0:1], v[4:5], v[16:17]
	v_add_f64 v[2:3], v[12:13], v[18:19]
	v_mul_f64 v[44:45], v[50:51], s[12:13]
	v_mul_f64 v[46:47], v[8:9], s[12:13]
	v_fma_f64 v[4:5], v[28:29], s[18:19], v[20:21]
	v_fma_f64 v[12:13], v[30:31], s[18:19], v[22:23]
	v_fma_f64 v[28:29], v[36:37], s[22:23], -v[32:33]
	v_fma_f64 v[30:31], v[38:39], s[22:23], -v[34:35]
	v_fma_f64 v[32:33], v[48:49], s[6:7], v[40:41]
	v_fma_f64 v[34:35], v[10:11], s[6:7], v[42:43]
	;; [unrolled: 1-line block ×4, first 2 shown]
	v_fma_f64 v[20:21], v[36:37], s[16:17], -v[20:21]
	v_fma_f64 v[22:23], v[38:39], s[16:17], -v[22:23]
	v_fma_f64 v[8:9], v[8:9], s[12:13], -v[42:43]
	v_fma_f64 v[38:39], v[48:49], s[10:11], -v[44:45]
	v_fma_f64 v[10:11], v[10:11], s[10:11], -v[46:47]
	v_fma_f64 v[36:37], v[50:51], s[12:13], -v[40:41]
	v_fma_f64 v[32:33], v[6:7], s[2:3], v[32:33]
	v_fma_f64 v[34:35], v[14:15], s[2:3], v[34:35]
	v_add_f64 v[44:45], v[4:5], v[16:17]
	v_add_f64 v[46:47], v[12:13], v[18:19]
	v_fma_f64 v[40:41], v[14:15], s[2:3], v[8:9]
	v_fma_f64 v[38:39], v[6:7], s[2:3], v[38:39]
	;; [unrolled: 1-line block ×3, first 2 shown]
	v_add_f64 v[12:13], v[28:29], v[16:17]
	v_add_f64 v[14:15], v[30:31], v[18:19]
	v_add_f64 v[16:17], v[20:21], v[16:17]
	v_add_f64 v[18:19], v[22:23], v[18:19]
	v_fma_f64 v[36:37], v[6:7], s[2:3], v[36:37]
	global_store_dwordx4 v[24:25], v[0:3], off
	v_add_co_u32_e32 v28, vcc, v26, v58
	v_add_f64 v[0:1], v[34:35], v[44:45]
	v_add_f64 v[2:3], v[46:47], -v[32:33]
	v_add_f64 v[4:5], v[42:43], v[16:17]
	v_add_f64 v[6:7], v[18:19], -v[38:39]
	v_add_f64 v[8:9], v[12:13], -v[40:41]
	v_add_f64 v[10:11], v[36:37], v[14:15]
	v_add_f64 v[16:17], v[16:17], -v[42:43]
	v_add_f64 v[18:19], v[38:39], v[18:19]
	v_add_f64 v[12:13], v[40:41], v[12:13]
	v_add_f64 v[14:15], v[14:15], -v[36:37]
	v_add_f64 v[20:21], v[44:45], -v[34:35]
	v_add_f64 v[22:23], v[32:33], v[46:47]
	v_addc_co_u32_e32 v29, vcc, v27, v59, vcc
	global_store_dwordx4 v[52:53], v[0:3], off
	global_store_dwordx4 v[54:55], v[4:7], off
	;; [unrolled: 1-line block ×4, first 2 shown]
	v_add_co_u32_e32 v0, vcc, v26, v60
	v_addc_co_u32_e32 v1, vcc, v27, v61, vcc
	global_store_dwordx4 v[0:1], v[16:19], off
	v_lshlrev_b64 v[0:1], 4, v[120:121]
	v_add_co_u32_e32 v0, vcc, v26, v0
	v_addc_co_u32_e32 v1, vcc, v27, v1, vcc
	global_store_dwordx4 v[0:1], v[20:23], off
.LBB0_20:
	s_endpgm
	.section	.rodata,"a",@progbits
	.p2align	6, 0x0
	.amdhsa_kernel fft_rtc_back_len1701_factors_3_3_3_3_3_7_wgs_63_tpt_63_halfLds_dp_op_CI_CI_unitstride_sbrr_dirReg
		.amdhsa_group_segment_fixed_size 0
		.amdhsa_private_segment_fixed_size 0
		.amdhsa_kernarg_size 104
		.amdhsa_user_sgpr_count 6
		.amdhsa_user_sgpr_private_segment_buffer 1
		.amdhsa_user_sgpr_dispatch_ptr 0
		.amdhsa_user_sgpr_queue_ptr 0
		.amdhsa_user_sgpr_kernarg_segment_ptr 1
		.amdhsa_user_sgpr_dispatch_id 0
		.amdhsa_user_sgpr_flat_scratch_init 0
		.amdhsa_user_sgpr_private_segment_size 0
		.amdhsa_uses_dynamic_stack 0
		.amdhsa_system_sgpr_private_segment_wavefront_offset 0
		.amdhsa_system_sgpr_workgroup_id_x 1
		.amdhsa_system_sgpr_workgroup_id_y 0
		.amdhsa_system_sgpr_workgroup_id_z 0
		.amdhsa_system_sgpr_workgroup_info 0
		.amdhsa_system_vgpr_workitem_id 0
		.amdhsa_next_free_vgpr 202
		.amdhsa_next_free_sgpr 30
		.amdhsa_reserve_vcc 1
		.amdhsa_reserve_flat_scratch 0
		.amdhsa_float_round_mode_32 0
		.amdhsa_float_round_mode_16_64 0
		.amdhsa_float_denorm_mode_32 3
		.amdhsa_float_denorm_mode_16_64 3
		.amdhsa_dx10_clamp 1
		.amdhsa_ieee_mode 1
		.amdhsa_fp16_overflow 0
		.amdhsa_exception_fp_ieee_invalid_op 0
		.amdhsa_exception_fp_denorm_src 0
		.amdhsa_exception_fp_ieee_div_zero 0
		.amdhsa_exception_fp_ieee_overflow 0
		.amdhsa_exception_fp_ieee_underflow 0
		.amdhsa_exception_fp_ieee_inexact 0
		.amdhsa_exception_int_div_zero 0
	.end_amdhsa_kernel
	.text
.Lfunc_end0:
	.size	fft_rtc_back_len1701_factors_3_3_3_3_3_7_wgs_63_tpt_63_halfLds_dp_op_CI_CI_unitstride_sbrr_dirReg, .Lfunc_end0-fft_rtc_back_len1701_factors_3_3_3_3_3_7_wgs_63_tpt_63_halfLds_dp_op_CI_CI_unitstride_sbrr_dirReg
                                        ; -- End function
	.section	.AMDGPU.csdata,"",@progbits
; Kernel info:
; codeLenInByte = 19652
; NumSgprs: 34
; NumVgprs: 202
; ScratchSize: 0
; MemoryBound: 1
; FloatMode: 240
; IeeeMode: 1
; LDSByteSize: 0 bytes/workgroup (compile time only)
; SGPRBlocks: 4
; VGPRBlocks: 50
; NumSGPRsForWavesPerEU: 34
; NumVGPRsForWavesPerEU: 202
; Occupancy: 1
; WaveLimiterHint : 1
; COMPUTE_PGM_RSRC2:SCRATCH_EN: 0
; COMPUTE_PGM_RSRC2:USER_SGPR: 6
; COMPUTE_PGM_RSRC2:TRAP_HANDLER: 0
; COMPUTE_PGM_RSRC2:TGID_X_EN: 1
; COMPUTE_PGM_RSRC2:TGID_Y_EN: 0
; COMPUTE_PGM_RSRC2:TGID_Z_EN: 0
; COMPUTE_PGM_RSRC2:TIDIG_COMP_CNT: 0
	.type	__hip_cuid_5781b515e835475a,@object ; @__hip_cuid_5781b515e835475a
	.section	.bss,"aw",@nobits
	.globl	__hip_cuid_5781b515e835475a
__hip_cuid_5781b515e835475a:
	.byte	0                               ; 0x0
	.size	__hip_cuid_5781b515e835475a, 1

	.ident	"AMD clang version 19.0.0git (https://github.com/RadeonOpenCompute/llvm-project roc-6.4.0 25133 c7fe45cf4b819c5991fe208aaa96edf142730f1d)"
	.section	".note.GNU-stack","",@progbits
	.addrsig
	.addrsig_sym __hip_cuid_5781b515e835475a
	.amdgpu_metadata
---
amdhsa.kernels:
  - .args:
      - .actual_access:  read_only
        .address_space:  global
        .offset:         0
        .size:           8
        .value_kind:     global_buffer
      - .offset:         8
        .size:           8
        .value_kind:     by_value
      - .actual_access:  read_only
        .address_space:  global
        .offset:         16
        .size:           8
        .value_kind:     global_buffer
      - .actual_access:  read_only
        .address_space:  global
        .offset:         24
        .size:           8
        .value_kind:     global_buffer
      - .actual_access:  read_only
        .address_space:  global
        .offset:         32
        .size:           8
        .value_kind:     global_buffer
      - .offset:         40
        .size:           8
        .value_kind:     by_value
      - .actual_access:  read_only
        .address_space:  global
        .offset:         48
        .size:           8
        .value_kind:     global_buffer
      - .actual_access:  read_only
        .address_space:  global
        .offset:         56
        .size:           8
        .value_kind:     global_buffer
      - .offset:         64
        .size:           4
        .value_kind:     by_value
      - .actual_access:  read_only
        .address_space:  global
        .offset:         72
        .size:           8
        .value_kind:     global_buffer
      - .actual_access:  read_only
        .address_space:  global
        .offset:         80
        .size:           8
        .value_kind:     global_buffer
      - .actual_access:  read_only
        .address_space:  global
        .offset:         88
        .size:           8
        .value_kind:     global_buffer
      - .actual_access:  write_only
        .address_space:  global
        .offset:         96
        .size:           8
        .value_kind:     global_buffer
    .group_segment_fixed_size: 0
    .kernarg_segment_align: 8
    .kernarg_segment_size: 104
    .language:       OpenCL C
    .language_version:
      - 2
      - 0
    .max_flat_workgroup_size: 63
    .name:           fft_rtc_back_len1701_factors_3_3_3_3_3_7_wgs_63_tpt_63_halfLds_dp_op_CI_CI_unitstride_sbrr_dirReg
    .private_segment_fixed_size: 0
    .sgpr_count:     34
    .sgpr_spill_count: 0
    .symbol:         fft_rtc_back_len1701_factors_3_3_3_3_3_7_wgs_63_tpt_63_halfLds_dp_op_CI_CI_unitstride_sbrr_dirReg.kd
    .uniform_work_group_size: 1
    .uses_dynamic_stack: false
    .vgpr_count:     202
    .vgpr_spill_count: 0
    .wavefront_size: 64
amdhsa.target:   amdgcn-amd-amdhsa--gfx906
amdhsa.version:
  - 1
  - 2
...

	.end_amdgpu_metadata
